;; amdgpu-corpus repo=ROCm/rocSPARSE kind=compiled arch=gfx1100 opt=O3
	.text
	.amdgcn_target "amdgcn-amd-amdhsa--gfx1100"
	.amdhsa_code_object_version 6
	.section	.text._ZN9rocsparseL29csrgemm_intermediate_productsILj256ELj8EiiEEvT2_PKT1_PKS1_S4_S4_PS2_21rocsparse_index_base_bb,"axG",@progbits,_ZN9rocsparseL29csrgemm_intermediate_productsILj256ELj8EiiEEvT2_PKT1_PKS1_S4_S4_PS2_21rocsparse_index_base_bb,comdat
	.globl	_ZN9rocsparseL29csrgemm_intermediate_productsILj256ELj8EiiEEvT2_PKT1_PKS1_S4_S4_PS2_21rocsparse_index_base_bb ; -- Begin function _ZN9rocsparseL29csrgemm_intermediate_productsILj256ELj8EiiEEvT2_PKT1_PKS1_S4_S4_PS2_21rocsparse_index_base_bb
	.p2align	8
	.type	_ZN9rocsparseL29csrgemm_intermediate_productsILj256ELj8EiiEEvT2_PKT1_PKS1_S4_S4_PS2_21rocsparse_index_base_bb,@function
_ZN9rocsparseL29csrgemm_intermediate_productsILj256ELj8EiiEEvT2_PKT1_PKS1_S4_S4_PS2_21rocsparse_index_base_bb: ; @_ZN9rocsparseL29csrgemm_intermediate_productsILj256ELj8EiiEEvT2_PKT1_PKS1_S4_S4_PS2_21rocsparse_index_base_bb
; %bb.0:
	s_load_b32 s2, s[0:1], 0x0
	v_lshl_or_b32 v1, s15, 8, v0
	s_delay_alu instid0(VALU_DEP_1) | instskip(SKIP_1) | instid1(VALU_DEP_1)
	v_lshrrev_b32_e32 v1, 3, v1
	s_waitcnt lgkmcnt(0)
	v_cmp_gt_i32_e32 vcc_lo, s2, v1
	s_and_saveexec_b32 s2, vcc_lo
	s_cbranch_execz .LBB0_11
; %bb.1:
	s_clause 0x1
	s_load_b64 s[2:3], s[0:1], 0x30
	s_load_b128 s[4:7], s[0:1], 0x20
	v_dual_mov_b32 v0, 0 :: v_dual_and_b32 v3, 7, v0
	v_lshlrev_b32_e32 v2, 2, v1
	s_waitcnt lgkmcnt(0)
	s_bitcmp0_b32 s3, 0
	s_cbranch_scc1 .LBB0_7
; %bb.2:
	s_load_b64 s[8:9], s[0:1], 0x8
	v_subrev_nc_u32_e32 v4, s2, v3
	s_mov_b32 s3, exec_lo
	s_waitcnt lgkmcnt(0)
	global_load_b64 v[0:1], v2, s[8:9]
	s_waitcnt vmcnt(0)
	v_subrev_nc_u32_e32 v5, s2, v1
	v_add_nc_u32_e32 v0, v4, v0
	v_mov_b32_e32 v4, 0
	s_delay_alu instid0(VALU_DEP_2)
	v_cmpx_lt_i32_e64 v0, v5
	s_cbranch_execz .LBB0_6
; %bb.3:
	s_load_b128 s[8:11], s[0:1], 0x10
	v_mov_b32_e32 v4, 0
	s_mov_b32 s12, 0
	.p2align	6
.LBB0_4:                                ; =>This Inner Loop Header: Depth=1
	v_ashrrev_i32_e32 v1, 31, v0
	s_delay_alu instid0(VALU_DEP_1) | instskip(SKIP_2) | instid1(VALU_DEP_2)
	v_lshlrev_b64 v[6:7], 2, v[0:1]
	v_add_nc_u32_e32 v0, 8, v0
	s_waitcnt lgkmcnt(0)
	v_add_co_u32 v6, vcc_lo, s8, v6
	s_delay_alu instid0(VALU_DEP_3) | instskip(SKIP_3) | instid1(VALU_DEP_1)
	v_add_co_ci_u32_e32 v7, vcc_lo, s9, v7, vcc_lo
	global_load_b32 v1, v[6:7], off
	s_waitcnt vmcnt(0)
	v_subrev_nc_u32_e32 v6, s2, v1
	v_ashrrev_i32_e32 v7, 31, v6
	s_delay_alu instid0(VALU_DEP_1) | instskip(NEXT) | instid1(VALU_DEP_1)
	v_lshlrev_b64 v[6:7], 2, v[6:7]
	v_add_co_u32 v6, vcc_lo, s10, v6
	s_delay_alu instid0(VALU_DEP_2)
	v_add_co_ci_u32_e32 v7, vcc_lo, s11, v7, vcc_lo
	v_cmp_ge_i32_e32 vcc_lo, v0, v5
	global_load_b64 v[6:7], v[6:7], off
	s_or_b32 s12, vcc_lo, s12
	s_waitcnt vmcnt(0)
	v_add_nc_u32_e32 v1, v7, v4
	s_delay_alu instid0(VALU_DEP_1)
	v_sub_nc_u32_e32 v4, v1, v6
	s_and_not1_b32 exec_lo, exec_lo, s12
	s_cbranch_execnz .LBB0_4
; %bb.5:
	s_or_b32 exec_lo, exec_lo, s12
.LBB0_6:
	s_delay_alu instid0(SALU_CYCLE_1) | instskip(SKIP_1) | instid1(VALU_DEP_1)
	s_or_b32 exec_lo, exec_lo, s3
	v_mbcnt_lo_u32_b32 v0, -1, 0
	v_xor_b32_e32 v1, 4, v0
	v_xor_b32_e32 v5, 2, v0
	s_delay_alu instid0(VALU_DEP_2) | instskip(SKIP_1) | instid1(VALU_DEP_3)
	v_cmp_gt_i32_e32 vcc_lo, 32, v1
	v_cndmask_b32_e32 v1, v0, v1, vcc_lo
	v_cmp_gt_i32_e32 vcc_lo, 32, v5
	s_delay_alu instid0(VALU_DEP_2)
	v_lshlrev_b32_e32 v1, 2, v1
	v_cndmask_b32_e32 v5, v0, v5, vcc_lo
	ds_bpermute_b32 v1, v1, v4
	v_lshlrev_b32_e32 v5, 2, v5
	s_waitcnt lgkmcnt(0)
	v_add_nc_u32_e32 v1, v1, v4
	ds_bpermute_b32 v4, v5, v1
	v_xor_b32_e32 v5, 1, v0
	s_delay_alu instid0(VALU_DEP_1) | instskip(SKIP_1) | instid1(VALU_DEP_1)
	v_cmp_gt_i32_e32 vcc_lo, 32, v5
	v_cndmask_b32_e32 v0, v0, v5, vcc_lo
	v_lshlrev_b32_e32 v0, 2, v0
	s_waitcnt lgkmcnt(0)
	v_add_nc_u32_e32 v1, v4, v1
	ds_bpermute_b32 v0, v0, v1
	s_waitcnt lgkmcnt(0)
	v_add_nc_u32_e32 v0, v0, v1
.LBB0_7:
	v_cmp_eq_u32_e32 vcc_lo, 7, v3
	s_and_b32 exec_lo, exec_lo, vcc_lo
	s_cbranch_execz .LBB0_11
; %bb.8:
	s_load_b32 s0, s[0:1], 0x34
	s_waitcnt lgkmcnt(0)
	s_bfe_u32 s0, s0, 0x10008
	s_delay_alu instid0(SALU_CYCLE_1)
	s_cmp_eq_u32 s0, 0
	s_cbranch_scc1 .LBB0_10
; %bb.9:
	global_load_b64 v[3:4], v2, s[4:5]
	s_waitcnt vmcnt(0)
	v_add_nc_u32_e32 v0, v4, v0
	s_delay_alu instid0(VALU_DEP_1)
	v_sub_nc_u32_e32 v0, v0, v3
.LBB0_10:
	global_store_b32 v2, v0, s[6:7]
.LBB0_11:
	s_nop 0
	s_sendmsg sendmsg(MSG_DEALLOC_VGPRS)
	s_endpgm
	.section	.rodata,"a",@progbits
	.p2align	6, 0x0
	.amdhsa_kernel _ZN9rocsparseL29csrgemm_intermediate_productsILj256ELj8EiiEEvT2_PKT1_PKS1_S4_S4_PS2_21rocsparse_index_base_bb
		.amdhsa_group_segment_fixed_size 0
		.amdhsa_private_segment_fixed_size 0
		.amdhsa_kernarg_size 56
		.amdhsa_user_sgpr_count 15
		.amdhsa_user_sgpr_dispatch_ptr 0
		.amdhsa_user_sgpr_queue_ptr 0
		.amdhsa_user_sgpr_kernarg_segment_ptr 1
		.amdhsa_user_sgpr_dispatch_id 0
		.amdhsa_user_sgpr_private_segment_size 0
		.amdhsa_wavefront_size32 1
		.amdhsa_uses_dynamic_stack 0
		.amdhsa_enable_private_segment 0
		.amdhsa_system_sgpr_workgroup_id_x 1
		.amdhsa_system_sgpr_workgroup_id_y 0
		.amdhsa_system_sgpr_workgroup_id_z 0
		.amdhsa_system_sgpr_workgroup_info 0
		.amdhsa_system_vgpr_workitem_id 0
		.amdhsa_next_free_vgpr 8
		.amdhsa_next_free_sgpr 16
		.amdhsa_reserve_vcc 1
		.amdhsa_float_round_mode_32 0
		.amdhsa_float_round_mode_16_64 0
		.amdhsa_float_denorm_mode_32 3
		.amdhsa_float_denorm_mode_16_64 3
		.amdhsa_dx10_clamp 1
		.amdhsa_ieee_mode 1
		.amdhsa_fp16_overflow 0
		.amdhsa_workgroup_processor_mode 1
		.amdhsa_memory_ordered 1
		.amdhsa_forward_progress 0
		.amdhsa_shared_vgpr_count 0
		.amdhsa_exception_fp_ieee_invalid_op 0
		.amdhsa_exception_fp_denorm_src 0
		.amdhsa_exception_fp_ieee_div_zero 0
		.amdhsa_exception_fp_ieee_overflow 0
		.amdhsa_exception_fp_ieee_underflow 0
		.amdhsa_exception_fp_ieee_inexact 0
		.amdhsa_exception_int_div_zero 0
	.end_amdhsa_kernel
	.section	.text._ZN9rocsparseL29csrgemm_intermediate_productsILj256ELj8EiiEEvT2_PKT1_PKS1_S4_S4_PS2_21rocsparse_index_base_bb,"axG",@progbits,_ZN9rocsparseL29csrgemm_intermediate_productsILj256ELj8EiiEEvT2_PKT1_PKS1_S4_S4_PS2_21rocsparse_index_base_bb,comdat
.Lfunc_end0:
	.size	_ZN9rocsparseL29csrgemm_intermediate_productsILj256ELj8EiiEEvT2_PKT1_PKS1_S4_S4_PS2_21rocsparse_index_base_bb, .Lfunc_end0-_ZN9rocsparseL29csrgemm_intermediate_productsILj256ELj8EiiEEvT2_PKT1_PKS1_S4_S4_PS2_21rocsparse_index_base_bb
                                        ; -- End function
	.section	.AMDGPU.csdata,"",@progbits
; Kernel info:
; codeLenInByte = 504
; NumSgprs: 18
; NumVgprs: 8
; ScratchSize: 0
; MemoryBound: 0
; FloatMode: 240
; IeeeMode: 1
; LDSByteSize: 0 bytes/workgroup (compile time only)
; SGPRBlocks: 2
; VGPRBlocks: 0
; NumSGPRsForWavesPerEU: 18
; NumVGPRsForWavesPerEU: 8
; Occupancy: 16
; WaveLimiterHint : 1
; COMPUTE_PGM_RSRC2:SCRATCH_EN: 0
; COMPUTE_PGM_RSRC2:USER_SGPR: 15
; COMPUTE_PGM_RSRC2:TRAP_HANDLER: 0
; COMPUTE_PGM_RSRC2:TGID_X_EN: 1
; COMPUTE_PGM_RSRC2:TGID_Y_EN: 0
; COMPUTE_PGM_RSRC2:TGID_Z_EN: 0
; COMPUTE_PGM_RSRC2:TIDIG_COMP_CNT: 0
	.section	.text._ZN9rocsparseL26csrgemm_group_reduce_part1ILj256ELj11EiiEEvT2_PT1_PS1_j,"axG",@progbits,_ZN9rocsparseL26csrgemm_group_reduce_part1ILj256ELj11EiiEEvT2_PT1_PS1_j,comdat
	.globl	_ZN9rocsparseL26csrgemm_group_reduce_part1ILj256ELj11EiiEEvT2_PT1_PS1_j ; -- Begin function _ZN9rocsparseL26csrgemm_group_reduce_part1ILj256ELj11EiiEEvT2_PT1_PS1_j
	.p2align	8
	.type	_ZN9rocsparseL26csrgemm_group_reduce_part1ILj256ELj11EiiEEvT2_PT1_PS1_j,@function
_ZN9rocsparseL26csrgemm_group_reduce_part1ILj256ELj11EiiEEvT2_PT1_PS1_j: ; @_ZN9rocsparseL26csrgemm_group_reduce_part1ILj256ELj11EiiEEvT2_PT1_PS1_j
; %bb.0:
	s_clause 0x1
	s_load_b32 s4, s[0:1], 0x0
	s_load_b64 s[2:3], s[0:1], 0x10
	v_mul_u32_u24_e32 v2, 11, v0
	v_mov_b32_e32 v3, 0
	v_lshl_or_b32 v1, s15, 8, v0
	s_mov_b32 s5, 0
	s_mov_b32 s6, exec_lo
	v_lshlrev_b32_e32 v4, 2, v2
	ds_store_2addr_b32 v4, v3, v3 offset1:1
	ds_store_2addr_b32 v4, v3, v3 offset0:2 offset1:3
	ds_store_2addr_b32 v4, v3, v3 offset0:4 offset1:5
	;; [unrolled: 1-line block ×4, first 2 shown]
	ds_store_b32 v4, v3 offset:40
	s_waitcnt lgkmcnt(0)
	buffer_gl0_inv
	v_cmpx_gt_i32_e64 s4, v1
	s_cbranch_execz .LBB1_21
; %bb.1:
	s_clause 0x2
	s_load_b32 s9, s[0:1], 0x18
	s_load_b32 s10, s[0:1], 0x20
	s_load_b64 s[0:1], s[0:1], 0x8
	v_add_nc_u32_e32 v5, 8, v4
	v_add_nc_u32_e32 v6, 16, v4
	;; [unrolled: 1-line block ×10, first 2 shown]
	s_waitcnt lgkmcnt(0)
	s_cmp_lt_u32 s9, 0x10000
	s_cselect_b32 s7, -1, 0
	s_cmp_lt_u32 s9, 0x20000
	s_cselect_b32 s8, -1, 0
	;; [unrolled: 2-line block ×3, first 2 shown]
	s_lshl_b32 s10, s10, 8
	s_branch .LBB1_11
.LBB1_2:                                ;   in Loop: Header=BB1_11 Depth=1
	s_or_b32 exec_lo, exec_lo, s20
.LBB1_3:                                ;   in Loop: Header=BB1_11 Depth=1
	s_delay_alu instid0(SALU_CYCLE_1)
	s_or_b32 exec_lo, exec_lo, s19
.LBB1_4:                                ;   in Loop: Header=BB1_11 Depth=1
	s_delay_alu instid0(SALU_CYCLE_1)
	s_or_b32 exec_lo, exec_lo, s18
.LBB1_5:                                ;   in Loop: Header=BB1_11 Depth=1
	s_delay_alu instid0(SALU_CYCLE_1)
	s_or_b32 exec_lo, exec_lo, s17
.LBB1_6:                                ;   in Loop: Header=BB1_11 Depth=1
	s_delay_alu instid0(SALU_CYCLE_1)
	s_or_b32 exec_lo, exec_lo, s16
.LBB1_7:                                ;   in Loop: Header=BB1_11 Depth=1
	s_delay_alu instid0(SALU_CYCLE_1)
	s_or_b32 exec_lo, exec_lo, s14
.LBB1_8:                                ;   in Loop: Header=BB1_11 Depth=1
	s_delay_alu instid0(SALU_CYCLE_1)
	s_or_b32 exec_lo, exec_lo, s13
.LBB1_9:                                ;   in Loop: Header=BB1_11 Depth=1
	s_delay_alu instid0(SALU_CYCLE_1)
	s_or_b32 exec_lo, exec_lo, s12
.LBB1_10:                               ;   in Loop: Header=BB1_11 Depth=1
	s_delay_alu instid0(SALU_CYCLE_1)
	s_or_b32 exec_lo, exec_lo, s11
	ds_load_b32 v17, v16
	v_add_nc_u32_e32 v1, s10, v1
	global_store_b32 v[2:3], v15, off
	v_cmp_le_i32_e32 vcc_lo, s4, v1
	s_or_b32 s5, vcc_lo, s5
	s_waitcnt lgkmcnt(0)
	v_add_nc_u32_e32 v17, 1, v17
	ds_store_b32 v16, v17
	s_and_not1_b32 exec_lo, exec_lo, s5
	s_cbranch_execz .LBB1_21
.LBB1_11:                               ; =>This Inner Loop Header: Depth=1
	v_ashrrev_i32_e32 v2, 31, v1
	v_dual_mov_b32 v15, 0 :: v_dual_mov_b32 v16, v4
	s_mov_b32 s11, exec_lo
	s_delay_alu instid0(VALU_DEP_2) | instskip(NEXT) | instid1(VALU_DEP_1)
	v_lshlrev_b64 v[2:3], 2, v[1:2]
	v_add_co_u32 v2, vcc_lo, s0, v2
	s_delay_alu instid0(VALU_DEP_2)
	v_add_co_ci_u32_e32 v3, vcc_lo, s1, v3, vcc_lo
	global_load_b32 v17, v[2:3], off
	s_waitcnt vmcnt(0)
	v_cmpx_lt_i32_e32 32, v17
	s_cbranch_execz .LBB1_10
; %bb.12:                               ;   in Loop: Header=BB1_11 Depth=1
	v_dual_mov_b32 v15, 1 :: v_dual_mov_b32 v16, v10
	s_mov_b32 s12, exec_lo
	v_cmpx_lt_u32_e32 64, v17
	s_cbranch_execz .LBB1_9
; %bb.13:                               ;   in Loop: Header=BB1_11 Depth=1
	v_dual_mov_b32 v15, 2 :: v_dual_mov_b32 v16, v5
	s_mov_b32 s13, exec_lo
	v_cmpx_lt_u32_e32 0x200, v17
	;; [unrolled: 5-line block ×6, first 2 shown]
	s_cbranch_execz .LBB1_4
; %bb.18:                               ;   in Loop: Header=BB1_11 Depth=1
	v_cmp_lt_u32_e32 vcc_lo, 0x4000, v17
	v_dual_mov_b32 v15, 7 :: v_dual_mov_b32 v16, v13
	s_or_b32 s20, s7, vcc_lo
	s_delay_alu instid0(SALU_CYCLE_1)
	s_and_saveexec_b32 s19, s20
	s_cbranch_execz .LBB1_3
; %bb.19:                               ;   in Loop: Header=BB1_11 Depth=1
	v_cmp_lt_u32_e32 vcc_lo, 0x8000, v17
	v_dual_mov_b32 v15, 8 :: v_dual_mov_b32 v16, v8
	s_or_b32 s21, s8, vcc_lo
	s_delay_alu instid0(SALU_CYCLE_1)
	s_and_saveexec_b32 s20, s21
	s_cbranch_execz .LBB1_2
; %bb.20:                               ;   in Loop: Header=BB1_11 Depth=1
	v_cmp_lt_u32_e32 vcc_lo, 0x10000, v17
	s_or_b32 vcc_lo, s9, vcc_lo
	v_cndmask_b32_e32 v16, v14, v9, vcc_lo
	v_cndmask_b32_e64 v15, 9, 10, vcc_lo
	s_branch .LBB1_2
.LBB1_21:
	s_or_b32 exec_lo, exec_lo, s6
	s_delay_alu instid0(SALU_CYCLE_1)
	s_mov_b32 s0, exec_lo
	s_waitcnt lgkmcnt(0)
	s_waitcnt_vscnt null, 0x0
	s_barrier
	buffer_gl0_inv
	s_barrier
	buffer_gl0_inv
	;; [unrolled: 2-line block ×3, first 2 shown]
	v_cmpx_gt_u32_e32 0x80, v0
	s_cbranch_execz .LBB1_23
; %bb.22:
	v_add_nc_u32_e32 v1, 0x1600, v4
	v_add_nc_u32_e32 v3, 0x1608, v4
	;; [unrolled: 1-line block ×5, first 2 shown]
	ds_load_2addr_b32 v[1:2], v1 offset1:1
	ds_load_2addr_b32 v[5:6], v3 offset1:1
	;; [unrolled: 1-line block ×3, first 2 shown]
	v_add_nc_u32_e32 v3, 0x1618, v4
	ds_load_2addr_b32 v[9:10], v4 offset1:1
	ds_load_2addr_b32 v[11:12], v4 offset0:2 offset1:3
	ds_load_2addr_b32 v[13:14], v4 offset0:4 offset1:5
	;; [unrolled: 1-line block ×3, first 2 shown]
	ds_load_2addr_b32 v[17:18], v3 offset1:1
	ds_load_2addr_b32 v[19:20], v19 offset1:1
	ds_load_2addr_b32 v[21:22], v4 offset0:8 offset1:9
	ds_load_2addr_stride64_b32 v[23:24], v23 offset1:22
	s_waitcnt lgkmcnt(6)
	v_add_nc_u32_e32 v3, v11, v5
	v_add_nc_u32_e32 v1, v9, v1
	;; [unrolled: 1-line block ×4, first 2 shown]
	s_waitcnt lgkmcnt(5)
	v_add_nc_u32_e32 v6, v13, v7
	v_add_nc_u32_e32 v7, v14, v8
	s_waitcnt lgkmcnt(3)
	v_add_nc_u32_e32 v8, v15, v17
	v_add_nc_u32_e32 v9, v16, v18
	;; [unrolled: 3-line block ×3, first 2 shown]
	s_waitcnt lgkmcnt(0)
	v_add_nc_u32_e32 v12, v23, v24
	ds_store_2addr_b32 v4, v1, v2 offset1:1
	ds_store_2addr_b32 v4, v3, v5 offset0:2 offset1:3
	ds_store_2addr_b32 v4, v6, v7 offset0:4 offset1:5
	;; [unrolled: 1-line block ×4, first 2 shown]
	ds_store_b32 v4, v12 offset:40
.LBB1_23:
	s_or_b32 exec_lo, exec_lo, s0
	s_delay_alu instid0(SALU_CYCLE_1)
	s_mov_b32 s0, exec_lo
	s_waitcnt lgkmcnt(0)
	s_barrier
	buffer_gl0_inv
	v_cmpx_gt_u32_e32 64, v0
	s_cbranch_execz .LBB1_25
; %bb.24:
	v_add_nc_u32_e32 v1, 0xb00, v4
	v_add_nc_u32_e32 v3, 0xb08, v4
	;; [unrolled: 1-line block ×5, first 2 shown]
	ds_load_2addr_b32 v[1:2], v1 offset1:1
	ds_load_2addr_b32 v[5:6], v3 offset1:1
	;; [unrolled: 1-line block ×3, first 2 shown]
	v_add_nc_u32_e32 v3, 0xb18, v4
	ds_load_2addr_b32 v[9:10], v4 offset1:1
	ds_load_2addr_b32 v[11:12], v4 offset0:2 offset1:3
	ds_load_2addr_b32 v[13:14], v4 offset0:4 offset1:5
	ds_load_2addr_b32 v[15:16], v4 offset0:6 offset1:7
	ds_load_2addr_b32 v[17:18], v3 offset1:1
	ds_load_2addr_b32 v[19:20], v19 offset1:1
	ds_load_2addr_b32 v[21:22], v4 offset0:8 offset1:9
	ds_load_2addr_stride64_b32 v[23:24], v23 offset1:11
	s_waitcnt lgkmcnt(6)
	v_add_nc_u32_e32 v3, v11, v5
	v_add_nc_u32_e32 v1, v9, v1
	;; [unrolled: 1-line block ×4, first 2 shown]
	s_waitcnt lgkmcnt(5)
	v_add_nc_u32_e32 v6, v13, v7
	v_add_nc_u32_e32 v7, v14, v8
	s_waitcnt lgkmcnt(3)
	v_add_nc_u32_e32 v8, v15, v17
	v_add_nc_u32_e32 v9, v16, v18
	;; [unrolled: 3-line block ×3, first 2 shown]
	s_waitcnt lgkmcnt(0)
	v_add_nc_u32_e32 v12, v23, v24
	ds_store_2addr_b32 v4, v1, v2 offset1:1
	ds_store_2addr_b32 v4, v3, v5 offset0:2 offset1:3
	ds_store_2addr_b32 v4, v6, v7 offset0:4 offset1:5
	;; [unrolled: 1-line block ×4, first 2 shown]
	ds_store_b32 v4, v12 offset:40
.LBB1_25:
	s_or_b32 exec_lo, exec_lo, s0
	s_delay_alu instid0(SALU_CYCLE_1)
	s_mov_b32 s0, exec_lo
	s_waitcnt lgkmcnt(0)
	s_barrier
	buffer_gl0_inv
	v_cmpx_gt_u32_e32 32, v0
	s_cbranch_execz .LBB1_27
; %bb.26:
	v_add_nc_u32_e32 v3, 0x580, v4
	v_add_nc_u32_e32 v9, 0x588, v4
	ds_load_2addr_b32 v[1:2], v4 offset1:1
	ds_load_2addr_b32 v[5:6], v4 offset0:2 offset1:3
	v_add_nc_u32_e32 v11, 0x590, v4
	v_add_nc_u32_e32 v19, 0x5a0, v4
	ds_load_2addr_b32 v[7:8], v3 offset1:1
	v_add_nc_u32_e32 v3, 0x598, v4
	ds_load_2addr_b32 v[9:10], v9 offset1:1
	ds_load_2addr_b32 v[11:12], v11 offset1:1
	ds_load_2addr_b32 v[13:14], v4 offset0:4 offset1:5
	ds_load_2addr_b32 v[15:16], v4 offset0:6 offset1:7
	ds_load_2addr_b32 v[17:18], v3 offset1:1
	ds_load_2addr_b32 v[19:20], v19 offset1:1
	ds_load_2addr_b32 v[21:22], v4 offset0:8 offset1:9
	ds_load_b32 v3, v4 offset:1448
	ds_load_b32 v23, v4 offset:40
	s_waitcnt lgkmcnt(8)
	v_add_nc_u32_e32 v5, v5, v9
	v_add_nc_u32_e32 v6, v6, v10
	s_waitcnt lgkmcnt(4)
	v_add_nc_u32_e32 v9, v15, v17
	v_add_nc_u32_e32 v1, v1, v7
	;; [unrolled: 1-line block ×6, first 2 shown]
	s_waitcnt lgkmcnt(2)
	v_add_nc_u32_e32 v11, v21, v19
	v_add_nc_u32_e32 v12, v22, v20
	s_waitcnt lgkmcnt(0)
	v_add_nc_u32_e32 v3, v23, v3
	ds_store_2addr_b32 v4, v1, v2 offset1:1
	ds_store_2addr_b32 v4, v5, v6 offset0:2 offset1:3
	ds_store_2addr_b32 v4, v7, v8 offset0:4 offset1:5
	;; [unrolled: 1-line block ×4, first 2 shown]
	ds_store_b32 v4, v3 offset:40
.LBB1_27:
	s_or_b32 exec_lo, exec_lo, s0
	s_delay_alu instid0(SALU_CYCLE_1)
	s_mov_b32 s0, exec_lo
	s_waitcnt lgkmcnt(0)
	s_barrier
	buffer_gl0_inv
	v_cmpx_gt_u32_e32 16, v0
	s_cbranch_execz .LBB1_29
; %bb.28:
	ds_load_2addr_b32 v[1:2], v4 offset0:176 offset1:177
	ds_load_2addr_b32 v[5:6], v4 offset1:1
	ds_load_2addr_b32 v[7:8], v4 offset0:2 offset1:3
	ds_load_2addr_b32 v[9:10], v4 offset0:178 offset1:179
	ds_load_2addr_b32 v[11:12], v4 offset0:180 offset1:181
	ds_load_2addr_b32 v[13:14], v4 offset0:4 offset1:5
	ds_load_2addr_b32 v[15:16], v4 offset0:6 offset1:7
	ds_load_2addr_b32 v[17:18], v4 offset0:182 offset1:183
	ds_load_2addr_b32 v[19:20], v4 offset0:184 offset1:185
	ds_load_2addr_b32 v[21:22], v4 offset0:8 offset1:9
	ds_load_2addr_b32 v[23:24], v4 offset0:10 offset1:186
	s_waitcnt lgkmcnt(9)
	v_add_nc_u32_e32 v1, v5, v1
	v_add_nc_u32_e32 v2, v6, v2
	s_waitcnt lgkmcnt(7)
	v_add_nc_u32_e32 v3, v7, v9
	v_add_nc_u32_e32 v5, v8, v10
	s_waitcnt lgkmcnt(5)
	v_add_nc_u32_e32 v6, v13, v11
	v_add_nc_u32_e32 v7, v14, v12
	s_waitcnt lgkmcnt(3)
	v_add_nc_u32_e32 v8, v15, v17
	v_add_nc_u32_e32 v9, v16, v18
	s_waitcnt lgkmcnt(1)
	v_add_nc_u32_e32 v10, v21, v19
	v_add_nc_u32_e32 v11, v22, v20
	s_waitcnt lgkmcnt(0)
	v_add_nc_u32_e32 v12, v23, v24
	ds_store_2addr_b32 v4, v1, v2 offset1:1
	ds_store_2addr_b32 v4, v3, v5 offset0:2 offset1:3
	ds_store_2addr_b32 v4, v6, v7 offset0:4 offset1:5
	ds_store_2addr_b32 v4, v8, v9 offset0:6 offset1:7
	ds_store_2addr_b32 v4, v10, v11 offset0:8 offset1:9
	ds_store_b32 v4, v12 offset:40
.LBB1_29:
	s_or_b32 exec_lo, exec_lo, s0
	s_delay_alu instid0(SALU_CYCLE_1)
	s_mov_b32 s0, exec_lo
	s_waitcnt lgkmcnt(0)
	s_barrier
	buffer_gl0_inv
	v_cmpx_gt_u32_e32 8, v0
	s_cbranch_execz .LBB1_31
; %bb.30:
	ds_load_2addr_b32 v[1:2], v4 offset0:88 offset1:89
	ds_load_2addr_b32 v[5:6], v4 offset1:1
	ds_load_2addr_b32 v[7:8], v4 offset0:2 offset1:3
	ds_load_2addr_b32 v[9:10], v4 offset0:90 offset1:91
	ds_load_2addr_b32 v[11:12], v4 offset0:92 offset1:93
	ds_load_2addr_b32 v[13:14], v4 offset0:4 offset1:5
	ds_load_2addr_b32 v[15:16], v4 offset0:6 offset1:7
	ds_load_2addr_b32 v[17:18], v4 offset0:94 offset1:95
	ds_load_2addr_b32 v[19:20], v4 offset0:96 offset1:97
	ds_load_2addr_b32 v[21:22], v4 offset0:8 offset1:9
	ds_load_2addr_b32 v[23:24], v4 offset0:10 offset1:98
	s_waitcnt lgkmcnt(9)
	v_add_nc_u32_e32 v1, v5, v1
	v_add_nc_u32_e32 v2, v6, v2
	s_waitcnt lgkmcnt(7)
	v_add_nc_u32_e32 v3, v7, v9
	v_add_nc_u32_e32 v5, v8, v10
	s_waitcnt lgkmcnt(5)
	v_add_nc_u32_e32 v6, v13, v11
	v_add_nc_u32_e32 v7, v14, v12
	s_waitcnt lgkmcnt(3)
	v_add_nc_u32_e32 v8, v15, v17
	v_add_nc_u32_e32 v9, v16, v18
	s_waitcnt lgkmcnt(1)
	v_add_nc_u32_e32 v10, v21, v19
	v_add_nc_u32_e32 v11, v22, v20
	s_waitcnt lgkmcnt(0)
	v_add_nc_u32_e32 v12, v23, v24
	ds_store_2addr_b32 v4, v1, v2 offset1:1
	ds_store_2addr_b32 v4, v3, v5 offset0:2 offset1:3
	ds_store_2addr_b32 v4, v6, v7 offset0:4 offset1:5
	ds_store_2addr_b32 v4, v8, v9 offset0:6 offset1:7
	ds_store_2addr_b32 v4, v10, v11 offset0:8 offset1:9
	ds_store_b32 v4, v12 offset:40
.LBB1_31:
	;; [unrolled: 44-line block ×4, first 2 shown]
	s_or_b32 exec_lo, exec_lo, s0
	s_delay_alu instid0(SALU_CYCLE_1)
	s_mov_b32 s0, exec_lo
	s_waitcnt lgkmcnt(0)
	s_barrier
	buffer_gl0_inv
	v_cmpx_eq_u32_e32 0, v0
	s_cbranch_execz .LBB1_37
; %bb.36:
	v_mov_b32_e32 v23, 0
	ds_load_b128 v[1:4], v23
	ds_load_b128 v[5:8], v23 offset:32
	ds_load_b128 v[9:12], v23 offset:48
	;; [unrolled: 1-line block ×4, first 2 shown]
	ds_load_b64 v[21:22], v23 offset:80
	s_waitcnt lgkmcnt(4)
	v_add_nc_u32_e32 v1, v1, v8
	s_waitcnt lgkmcnt(3)
	v_add_nc_u32_e32 v2, v2, v9
	v_add_nc_u32_e32 v3, v3, v10
	v_add_nc_u32_e32 v4, v4, v11
	s_waitcnt lgkmcnt(2)
	v_add_nc_u32_e32 v8, v13, v12
	s_waitcnt lgkmcnt(1)
	v_add_nc_u32_e32 v9, v14, v17
	v_add_nc_u32_e32 v10, v15, v18
	;; [unrolled: 1-line block ×4, first 2 shown]
	s_waitcnt lgkmcnt(0)
	v_add_nc_u32_e32 v6, v6, v21
	v_add_nc_u32_e32 v7, v7, v22
	ds_store_b128 v23, v[1:4]
	ds_store_b128 v23, v[8:11] offset:16
	ds_store_b96 v23, v[5:7] offset:32
.LBB1_37:
	s_or_b32 exec_lo, exec_lo, s0
	s_waitcnt lgkmcnt(0)
	s_barrier
	buffer_gl0_inv
	s_mov_b32 s0, exec_lo
	v_cmpx_gt_u32_e32 11, v0
	s_cbranch_execz .LBB1_39
; %bb.38:
	v_lshlrev_b32_e32 v3, 2, v0
	v_mad_u64_u32 v[1:2], null, s15, 11, v[0:1]
	v_mov_b32_e32 v2, 0
	ds_load_b32 v3, v3
	v_lshlrev_b64 v[0:1], 2, v[1:2]
	s_delay_alu instid0(VALU_DEP_1) | instskip(NEXT) | instid1(VALU_DEP_2)
	v_add_co_u32 v0, vcc_lo, s2, v0
	v_add_co_ci_u32_e32 v1, vcc_lo, s3, v1, vcc_lo
	s_waitcnt lgkmcnt(0)
	global_store_b32 v[0:1], v3, off
.LBB1_39:
	s_nop 0
	s_sendmsg sendmsg(MSG_DEALLOC_VGPRS)
	s_endpgm
	.section	.rodata,"a",@progbits
	.p2align	6, 0x0
	.amdhsa_kernel _ZN9rocsparseL26csrgemm_group_reduce_part1ILj256ELj11EiiEEvT2_PT1_PS1_j
		.amdhsa_group_segment_fixed_size 11264
		.amdhsa_private_segment_fixed_size 0
		.amdhsa_kernarg_size 288
		.amdhsa_user_sgpr_count 15
		.amdhsa_user_sgpr_dispatch_ptr 0
		.amdhsa_user_sgpr_queue_ptr 0
		.amdhsa_user_sgpr_kernarg_segment_ptr 1
		.amdhsa_user_sgpr_dispatch_id 0
		.amdhsa_user_sgpr_private_segment_size 0
		.amdhsa_wavefront_size32 1
		.amdhsa_uses_dynamic_stack 0
		.amdhsa_enable_private_segment 0
		.amdhsa_system_sgpr_workgroup_id_x 1
		.amdhsa_system_sgpr_workgroup_id_y 0
		.amdhsa_system_sgpr_workgroup_id_z 0
		.amdhsa_system_sgpr_workgroup_info 0
		.amdhsa_system_vgpr_workitem_id 0
		.amdhsa_next_free_vgpr 25
		.amdhsa_next_free_sgpr 22
		.amdhsa_reserve_vcc 1
		.amdhsa_float_round_mode_32 0
		.amdhsa_float_round_mode_16_64 0
		.amdhsa_float_denorm_mode_32 3
		.amdhsa_float_denorm_mode_16_64 3
		.amdhsa_dx10_clamp 1
		.amdhsa_ieee_mode 1
		.amdhsa_fp16_overflow 0
		.amdhsa_workgroup_processor_mode 1
		.amdhsa_memory_ordered 1
		.amdhsa_forward_progress 0
		.amdhsa_shared_vgpr_count 0
		.amdhsa_exception_fp_ieee_invalid_op 0
		.amdhsa_exception_fp_denorm_src 0
		.amdhsa_exception_fp_ieee_div_zero 0
		.amdhsa_exception_fp_ieee_overflow 0
		.amdhsa_exception_fp_ieee_underflow 0
		.amdhsa_exception_fp_ieee_inexact 0
		.amdhsa_exception_int_div_zero 0
	.end_amdhsa_kernel
	.section	.text._ZN9rocsparseL26csrgemm_group_reduce_part1ILj256ELj11EiiEEvT2_PT1_PS1_j,"axG",@progbits,_ZN9rocsparseL26csrgemm_group_reduce_part1ILj256ELj11EiiEEvT2_PT1_PS1_j,comdat
.Lfunc_end1:
	.size	_ZN9rocsparseL26csrgemm_group_reduce_part1ILj256ELj11EiiEEvT2_PT1_PS1_j, .Lfunc_end1-_ZN9rocsparseL26csrgemm_group_reduce_part1ILj256ELj11EiiEEvT2_PT1_PS1_j
                                        ; -- End function
	.section	.AMDGPU.csdata,"",@progbits
; Kernel info:
; codeLenInByte = 2764
; NumSgprs: 24
; NumVgprs: 25
; ScratchSize: 0
; MemoryBound: 0
; FloatMode: 240
; IeeeMode: 1
; LDSByteSize: 11264 bytes/workgroup (compile time only)
; SGPRBlocks: 2
; VGPRBlocks: 3
; NumSGPRsForWavesPerEU: 24
; NumVGPRsForWavesPerEU: 25
; Occupancy: 16
; WaveLimiterHint : 0
; COMPUTE_PGM_RSRC2:SCRATCH_EN: 0
; COMPUTE_PGM_RSRC2:USER_SGPR: 15
; COMPUTE_PGM_RSRC2:TRAP_HANDLER: 0
; COMPUTE_PGM_RSRC2:TGID_X_EN: 1
; COMPUTE_PGM_RSRC2:TGID_Y_EN: 0
; COMPUTE_PGM_RSRC2:TGID_Z_EN: 0
; COMPUTE_PGM_RSRC2:TIDIG_COMP_CNT: 0
	.section	.text._ZN9rocsparseL26csrgemm_group_reduce_part3ILj256ELj11EiEEvPT1_,"axG",@progbits,_ZN9rocsparseL26csrgemm_group_reduce_part3ILj256ELj11EiEEvPT1_,comdat
	.globl	_ZN9rocsparseL26csrgemm_group_reduce_part3ILj256ELj11EiEEvPT1_ ; -- Begin function _ZN9rocsparseL26csrgemm_group_reduce_part3ILj256ELj11EiEEvPT1_
	.p2align	8
	.type	_ZN9rocsparseL26csrgemm_group_reduce_part3ILj256ELj11EiEEvPT1_,@function
_ZN9rocsparseL26csrgemm_group_reduce_part3ILj256ELj11EiEEvPT1_: ; @_ZN9rocsparseL26csrgemm_group_reduce_part3ILj256ELj11EiEEvPT1_
; %bb.0:
	s_load_b64 s[2:3], s[0:1], 0x0
	v_lshlrev_b32_e32 v3, 2, v0
	v_or_b32_e32 v4, 0xffffff00, v0
	s_mov_b32 s1, 0
	s_waitcnt lgkmcnt(0)
	s_delay_alu instid0(VALU_DEP_2) | instskip(NEXT) | instid1(VALU_DEP_1)
	v_add_co_u32 v1, s0, s2, v3
	v_add_co_ci_u32_e64 v2, null, s3, 0, s0
	.p2align	6
.LBB2_1:                                ; =>This Inner Loop Header: Depth=1
	global_load_b32 v5, v[1:2], off
	v_add_nc_u32_e32 v4, 0x100, v4
	v_add_co_u32 v1, vcc_lo, 0x400, v1
	v_add_co_ci_u32_e32 v2, vcc_lo, 0, v2, vcc_lo
	s_delay_alu instid0(VALU_DEP_3) | instskip(NEXT) | instid1(VALU_DEP_1)
	v_cmp_lt_u32_e64 s0, 0x9ff, v4
	s_or_b32 s1, s0, s1
	s_waitcnt vmcnt(0)
	ds_store_b32 v3, v5
	v_add_nc_u32_e32 v3, 0x400, v3
	s_and_not1_b32 exec_lo, exec_lo, s1
	s_cbranch_execnz .LBB2_1
; %bb.2:
	s_or_b32 exec_lo, exec_lo, s1
	v_mul_u32_u24_e32 v1, 44, v0
	s_mov_b32 s0, exec_lo
	s_waitcnt lgkmcnt(0)
	s_barrier
	buffer_gl0_inv
	s_barrier
	buffer_gl0_inv
	;; [unrolled: 2-line block ×3, first 2 shown]
	v_cmpx_gt_u32_e32 0x80, v0
	s_cbranch_execz .LBB2_4
; %bb.3:
	v_mad_u32_u24 v8, v0, 44, 0x1600
	v_mad_u32_u24 v10, v0, 44, 0x1608
	;; [unrolled: 1-line block ×3, first 2 shown]
	ds_load_2addr_b32 v[2:3], v1 offset1:1
	ds_load_2addr_b32 v[4:5], v1 offset0:2 offset1:3
	ds_load_2addr_b32 v[6:7], v1 offset0:4 offset1:5
	v_mad_u32_u24 v14, v0, 44, 0x1618
	ds_load_2addr_b32 v[8:9], v8 offset1:1
	v_mad_u32_u24 v18, v0, 44, 0x1620
	ds_load_2addr_b32 v[10:11], v10 offset1:1
	ds_load_2addr_b32 v[12:13], v12 offset1:1
	;; [unrolled: 1-line block ×3, first 2 shown]
	v_add_nc_u32_e32 v22, 40, v1
	ds_load_2addr_b32 v[16:17], v1 offset0:6 offset1:7
	ds_load_2addr_b32 v[18:19], v18 offset1:1
	ds_load_2addr_b32 v[20:21], v1 offset0:8 offset1:9
	ds_load_2addr_stride64_b32 v[22:23], v22 offset1:22
	s_waitcnt lgkmcnt(6)
	v_add_nc_u32_e32 v4, v4, v10
	v_add_nc_u32_e32 v2, v2, v8
	;; [unrolled: 1-line block ×4, first 2 shown]
	s_waitcnt lgkmcnt(5)
	v_add_nc_u32_e32 v6, v6, v12
	v_add_nc_u32_e32 v7, v7, v13
	s_waitcnt lgkmcnt(3)
	v_add_nc_u32_e32 v8, v16, v14
	v_add_nc_u32_e32 v9, v17, v15
	;; [unrolled: 3-line block ×3, first 2 shown]
	s_waitcnt lgkmcnt(0)
	v_add_nc_u32_e32 v12, v22, v23
	ds_store_2addr_b32 v1, v2, v3 offset1:1
	ds_store_2addr_b32 v1, v4, v5 offset0:2 offset1:3
	ds_store_2addr_b32 v1, v6, v7 offset0:4 offset1:5
	;; [unrolled: 1-line block ×4, first 2 shown]
	ds_store_b32 v1, v12 offset:40
.LBB2_4:
	s_or_b32 exec_lo, exec_lo, s0
	s_delay_alu instid0(SALU_CYCLE_1)
	s_mov_b32 s0, exec_lo
	s_waitcnt lgkmcnt(0)
	s_barrier
	buffer_gl0_inv
	v_cmpx_gt_u32_e32 64, v0
	s_cbranch_execz .LBB2_6
; %bb.5:
	v_mad_u32_u24 v8, v0, 44, 0xb00
	v_mad_u32_u24 v10, v0, 44, 0xb08
	;; [unrolled: 1-line block ×3, first 2 shown]
	ds_load_2addr_b32 v[2:3], v1 offset1:1
	ds_load_2addr_b32 v[4:5], v1 offset0:2 offset1:3
	ds_load_2addr_b32 v[6:7], v1 offset0:4 offset1:5
	v_mad_u32_u24 v14, v0, 44, 0xb18
	ds_load_2addr_b32 v[8:9], v8 offset1:1
	v_mad_u32_u24 v18, v0, 44, 0xb20
	ds_load_2addr_b32 v[10:11], v10 offset1:1
	ds_load_2addr_b32 v[12:13], v12 offset1:1
	;; [unrolled: 1-line block ×3, first 2 shown]
	v_add_nc_u32_e32 v22, 40, v1
	ds_load_2addr_b32 v[16:17], v1 offset0:6 offset1:7
	ds_load_2addr_b32 v[18:19], v18 offset1:1
	ds_load_2addr_b32 v[20:21], v1 offset0:8 offset1:9
	ds_load_2addr_stride64_b32 v[22:23], v22 offset1:11
	s_waitcnt lgkmcnt(6)
	v_add_nc_u32_e32 v4, v4, v10
	v_add_nc_u32_e32 v2, v2, v8
	;; [unrolled: 1-line block ×4, first 2 shown]
	s_waitcnt lgkmcnt(5)
	v_add_nc_u32_e32 v6, v6, v12
	v_add_nc_u32_e32 v7, v7, v13
	s_waitcnt lgkmcnt(3)
	v_add_nc_u32_e32 v8, v16, v14
	v_add_nc_u32_e32 v9, v17, v15
	;; [unrolled: 3-line block ×3, first 2 shown]
	s_waitcnt lgkmcnt(0)
	v_add_nc_u32_e32 v12, v22, v23
	ds_store_2addr_b32 v1, v2, v3 offset1:1
	ds_store_2addr_b32 v1, v4, v5 offset0:2 offset1:3
	ds_store_2addr_b32 v1, v6, v7 offset0:4 offset1:5
	;; [unrolled: 1-line block ×4, first 2 shown]
	ds_store_b32 v1, v12 offset:40
.LBB2_6:
	s_or_b32 exec_lo, exec_lo, s0
	s_delay_alu instid0(SALU_CYCLE_1)
	s_mov_b32 s0, exec_lo
	s_waitcnt lgkmcnt(0)
	s_barrier
	buffer_gl0_inv
	v_cmpx_gt_u32_e32 32, v0
	s_cbranch_execz .LBB2_8
; %bb.7:
	v_mad_u32_u24 v2, v0, 44, 0x580
	v_mad_u32_u24 v12, v0, 44, 0x590
	;; [unrolled: 1-line block ×5, first 2 shown]
	ds_load_2addr_b32 v[2:3], v2 offset1:1
	ds_load_b32 v22, v1 offset:1448
	ds_load_b32 v23, v1 offset:40
	ds_load_2addr_b32 v[4:5], v1 offset1:1
	ds_load_2addr_b32 v[6:7], v1 offset0:2 offset1:3
	ds_load_2addr_b32 v[8:9], v1 offset0:4 offset1:5
	ds_load_2addr_b32 v[10:11], v10 offset1:1
	ds_load_2addr_b32 v[12:13], v12 offset1:1
	;; [unrolled: 1-line block ×3, first 2 shown]
	ds_load_2addr_b32 v[16:17], v1 offset0:6 offset1:7
	ds_load_2addr_b32 v[18:19], v1 offset0:8 offset1:9
	ds_load_2addr_b32 v[20:21], v20 offset1:1
	s_waitcnt lgkmcnt(9)
	v_add_nc_u32_e32 v22, v23, v22
	s_waitcnt lgkmcnt(8)
	v_add_nc_u32_e32 v2, v4, v2
	v_add_nc_u32_e32 v3, v5, v3
	s_waitcnt lgkmcnt(5)
	v_add_nc_u32_e32 v4, v6, v10
	;; [unrolled: 3-line block ×5, first 2 shown]
	v_add_nc_u32_e32 v11, v19, v21
	ds_store_2addr_b32 v1, v2, v3 offset1:1
	ds_store_2addr_b32 v1, v4, v5 offset0:2 offset1:3
	ds_store_2addr_b32 v1, v6, v7 offset0:4 offset1:5
	;; [unrolled: 1-line block ×4, first 2 shown]
	ds_store_b32 v1, v22 offset:40
.LBB2_8:
	s_or_b32 exec_lo, exec_lo, s0
	s_delay_alu instid0(SALU_CYCLE_1)
	s_mov_b32 s0, exec_lo
	s_waitcnt lgkmcnt(0)
	s_barrier
	buffer_gl0_inv
	v_cmpx_gt_u32_e32 16, v0
	s_cbranch_execz .LBB2_10
; %bb.9:
	ds_load_2addr_b32 v[2:3], v1 offset0:176 offset1:177
	ds_load_2addr_b32 v[4:5], v1 offset1:1
	ds_load_2addr_b32 v[6:7], v1 offset0:2 offset1:3
	ds_load_2addr_b32 v[8:9], v1 offset0:178 offset1:179
	ds_load_2addr_b32 v[10:11], v1 offset0:180 offset1:181
	ds_load_2addr_b32 v[12:13], v1 offset0:4 offset1:5
	ds_load_2addr_b32 v[14:15], v1 offset0:6 offset1:7
	ds_load_2addr_b32 v[16:17], v1 offset0:182 offset1:183
	ds_load_2addr_b32 v[18:19], v1 offset0:184 offset1:185
	ds_load_2addr_b32 v[20:21], v1 offset0:8 offset1:9
	ds_load_2addr_b32 v[22:23], v1 offset0:10 offset1:186
	s_waitcnt lgkmcnt(9)
	v_add_nc_u32_e32 v2, v4, v2
	v_add_nc_u32_e32 v3, v5, v3
	s_waitcnt lgkmcnt(7)
	v_add_nc_u32_e32 v4, v6, v8
	v_add_nc_u32_e32 v5, v7, v9
	s_waitcnt lgkmcnt(5)
	v_add_nc_u32_e32 v6, v12, v10
	v_add_nc_u32_e32 v7, v13, v11
	s_waitcnt lgkmcnt(3)
	v_add_nc_u32_e32 v8, v14, v16
	v_add_nc_u32_e32 v9, v15, v17
	s_waitcnt lgkmcnt(1)
	v_add_nc_u32_e32 v10, v20, v18
	v_add_nc_u32_e32 v11, v21, v19
	s_waitcnt lgkmcnt(0)
	v_add_nc_u32_e32 v12, v22, v23
	ds_store_2addr_b32 v1, v2, v3 offset1:1
	ds_store_2addr_b32 v1, v4, v5 offset0:2 offset1:3
	ds_store_2addr_b32 v1, v6, v7 offset0:4 offset1:5
	ds_store_2addr_b32 v1, v8, v9 offset0:6 offset1:7
	ds_store_2addr_b32 v1, v10, v11 offset0:8 offset1:9
	ds_store_b32 v1, v12 offset:40
.LBB2_10:
	s_or_b32 exec_lo, exec_lo, s0
	s_delay_alu instid0(SALU_CYCLE_1)
	s_mov_b32 s0, exec_lo
	s_waitcnt lgkmcnt(0)
	s_barrier
	buffer_gl0_inv
	v_cmpx_gt_u32_e32 8, v0
	s_cbranch_execz .LBB2_12
; %bb.11:
	ds_load_2addr_b32 v[2:3], v1 offset0:88 offset1:89
	ds_load_2addr_b32 v[4:5], v1 offset1:1
	ds_load_2addr_b32 v[6:7], v1 offset0:2 offset1:3
	ds_load_2addr_b32 v[8:9], v1 offset0:90 offset1:91
	ds_load_2addr_b32 v[10:11], v1 offset0:92 offset1:93
	ds_load_2addr_b32 v[12:13], v1 offset0:4 offset1:5
	ds_load_2addr_b32 v[14:15], v1 offset0:6 offset1:7
	ds_load_2addr_b32 v[16:17], v1 offset0:94 offset1:95
	ds_load_2addr_b32 v[18:19], v1 offset0:96 offset1:97
	ds_load_2addr_b32 v[20:21], v1 offset0:8 offset1:9
	ds_load_2addr_b32 v[22:23], v1 offset0:10 offset1:98
	s_waitcnt lgkmcnt(9)
	v_add_nc_u32_e32 v2, v4, v2
	v_add_nc_u32_e32 v3, v5, v3
	s_waitcnt lgkmcnt(7)
	v_add_nc_u32_e32 v4, v6, v8
	v_add_nc_u32_e32 v5, v7, v9
	s_waitcnt lgkmcnt(5)
	v_add_nc_u32_e32 v6, v12, v10
	v_add_nc_u32_e32 v7, v13, v11
	s_waitcnt lgkmcnt(3)
	v_add_nc_u32_e32 v8, v14, v16
	v_add_nc_u32_e32 v9, v15, v17
	s_waitcnt lgkmcnt(1)
	v_add_nc_u32_e32 v10, v20, v18
	v_add_nc_u32_e32 v11, v21, v19
	s_waitcnt lgkmcnt(0)
	v_add_nc_u32_e32 v12, v22, v23
	ds_store_2addr_b32 v1, v2, v3 offset1:1
	ds_store_2addr_b32 v1, v4, v5 offset0:2 offset1:3
	ds_store_2addr_b32 v1, v6, v7 offset0:4 offset1:5
	ds_store_2addr_b32 v1, v8, v9 offset0:6 offset1:7
	ds_store_2addr_b32 v1, v10, v11 offset0:8 offset1:9
	ds_store_b32 v1, v12 offset:40
.LBB2_12:
	;; [unrolled: 44-line block ×3, first 2 shown]
	s_or_b32 exec_lo, exec_lo, s0
	s_delay_alu instid0(SALU_CYCLE_1)
	s_mov_b32 s0, exec_lo
	s_waitcnt lgkmcnt(0)
	s_barrier
	buffer_gl0_inv
	v_cmpx_gt_u32_e32 2, v0
	s_cbranch_execz .LBB2_16
; %bb.15:
	v_mul_u32_u24_e32 v1, 11, v0
	s_delay_alu instid0(VALU_DEP_1)
	v_lshlrev_b32_e32 v23, 2, v1
	ds_load_2addr_b32 v[1:2], v23 offset0:22 offset1:23
	ds_load_2addr_b32 v[3:4], v23 offset1:1
	ds_load_2addr_b32 v[5:6], v23 offset0:2 offset1:3
	ds_load_2addr_b32 v[7:8], v23 offset0:24 offset1:25
	;; [unrolled: 1-line block ×9, first 2 shown]
	s_waitcnt lgkmcnt(9)
	v_add_nc_u32_e32 v1, v3, v1
	v_add_nc_u32_e32 v2, v4, v2
	s_waitcnt lgkmcnt(7)
	v_add_nc_u32_e32 v3, v5, v7
	v_add_nc_u32_e32 v4, v6, v8
	;; [unrolled: 3-line block ×5, first 2 shown]
	s_waitcnt lgkmcnt(0)
	v_add_nc_u32_e32 v11, v21, v22
	ds_store_2addr_b32 v23, v1, v2 offset1:1
	ds_store_2addr_b32 v23, v3, v4 offset0:2 offset1:3
	ds_store_2addr_b32 v23, v5, v6 offset0:4 offset1:5
	;; [unrolled: 1-line block ×4, first 2 shown]
	ds_store_b32 v23, v11 offset:40
.LBB2_16:
	s_or_b32 exec_lo, exec_lo, s0
	s_delay_alu instid0(SALU_CYCLE_1)
	s_mov_b32 s0, exec_lo
	s_waitcnt lgkmcnt(0)
	s_barrier
	buffer_gl0_inv
	v_cmpx_eq_u32_e32 0, v0
	s_cbranch_execz .LBB2_18
; %bb.17:
	v_mov_b32_e32 v23, 0
	ds_load_b128 v[1:4], v23
	ds_load_b128 v[5:8], v23 offset:32
	ds_load_b128 v[9:12], v23 offset:48
	;; [unrolled: 1-line block ×4, first 2 shown]
	ds_load_b64 v[21:22], v23 offset:80
	s_waitcnt lgkmcnt(4)
	v_add_nc_u32_e32 v1, v1, v8
	s_waitcnt lgkmcnt(3)
	v_add_nc_u32_e32 v2, v2, v9
	v_add_nc_u32_e32 v3, v3, v10
	;; [unrolled: 1-line block ×3, first 2 shown]
	s_waitcnt lgkmcnt(2)
	v_add_nc_u32_e32 v8, v13, v12
	s_waitcnt lgkmcnt(1)
	v_add_nc_u32_e32 v9, v14, v17
	v_add_nc_u32_e32 v10, v15, v18
	;; [unrolled: 1-line block ×4, first 2 shown]
	s_waitcnt lgkmcnt(0)
	v_add_nc_u32_e32 v6, v6, v21
	v_add_nc_u32_e32 v7, v7, v22
	ds_store_b128 v23, v[1:4]
	ds_store_b128 v23, v[8:11] offset:16
	ds_store_b96 v23, v[5:7] offset:32
.LBB2_18:
	s_or_b32 exec_lo, exec_lo, s0
	s_waitcnt lgkmcnt(0)
	s_barrier
	buffer_gl0_inv
	s_mov_b32 s0, exec_lo
	v_cmpx_gt_u32_e32 11, v0
	s_cbranch_execz .LBB2_20
; %bb.19:
	v_lshlrev_b32_e32 v0, 2, v0
	ds_load_b32 v1, v0
	s_waitcnt lgkmcnt(0)
	global_store_b32 v0, v1, s[2:3]
.LBB2_20:
	s_nop 0
	s_sendmsg sendmsg(MSG_DEALLOC_VGPRS)
	s_endpgm
	.section	.rodata,"a",@progbits
	.p2align	6, 0x0
	.amdhsa_kernel _ZN9rocsparseL26csrgemm_group_reduce_part3ILj256ELj11EiEEvPT1_
		.amdhsa_group_segment_fixed_size 11264
		.amdhsa_private_segment_fixed_size 0
		.amdhsa_kernarg_size 8
		.amdhsa_user_sgpr_count 15
		.amdhsa_user_sgpr_dispatch_ptr 0
		.amdhsa_user_sgpr_queue_ptr 0
		.amdhsa_user_sgpr_kernarg_segment_ptr 1
		.amdhsa_user_sgpr_dispatch_id 0
		.amdhsa_user_sgpr_private_segment_size 0
		.amdhsa_wavefront_size32 1
		.amdhsa_uses_dynamic_stack 0
		.amdhsa_enable_private_segment 0
		.amdhsa_system_sgpr_workgroup_id_x 1
		.amdhsa_system_sgpr_workgroup_id_y 0
		.amdhsa_system_sgpr_workgroup_id_z 0
		.amdhsa_system_sgpr_workgroup_info 0
		.amdhsa_system_vgpr_workitem_id 0
		.amdhsa_next_free_vgpr 24
		.amdhsa_next_free_sgpr 4
		.amdhsa_reserve_vcc 1
		.amdhsa_float_round_mode_32 0
		.amdhsa_float_round_mode_16_64 0
		.amdhsa_float_denorm_mode_32 3
		.amdhsa_float_denorm_mode_16_64 3
		.amdhsa_dx10_clamp 1
		.amdhsa_ieee_mode 1
		.amdhsa_fp16_overflow 0
		.amdhsa_workgroup_processor_mode 1
		.amdhsa_memory_ordered 1
		.amdhsa_forward_progress 0
		.amdhsa_shared_vgpr_count 0
		.amdhsa_exception_fp_ieee_invalid_op 0
		.amdhsa_exception_fp_denorm_src 0
		.amdhsa_exception_fp_ieee_div_zero 0
		.amdhsa_exception_fp_ieee_overflow 0
		.amdhsa_exception_fp_ieee_underflow 0
		.amdhsa_exception_fp_ieee_inexact 0
		.amdhsa_exception_int_div_zero 0
	.end_amdhsa_kernel
	.section	.text._ZN9rocsparseL26csrgemm_group_reduce_part3ILj256ELj11EiEEvPT1_,"axG",@progbits,_ZN9rocsparseL26csrgemm_group_reduce_part3ILj256ELj11EiEEvPT1_,comdat
.Lfunc_end2:
	.size	_ZN9rocsparseL26csrgemm_group_reduce_part3ILj256ELj11EiEEvPT1_, .Lfunc_end2-_ZN9rocsparseL26csrgemm_group_reduce_part3ILj256ELj11EiEEvPT1_
                                        ; -- End function
	.section	.AMDGPU.csdata,"",@progbits
; Kernel info:
; codeLenInByte = 2280
; NumSgprs: 6
; NumVgprs: 24
; ScratchSize: 0
; MemoryBound: 0
; FloatMode: 240
; IeeeMode: 1
; LDSByteSize: 11264 bytes/workgroup (compile time only)
; SGPRBlocks: 0
; VGPRBlocks: 2
; NumSGPRsForWavesPerEU: 6
; NumVGPRsForWavesPerEU: 24
; Occupancy: 16
; WaveLimiterHint : 0
; COMPUTE_PGM_RSRC2:SCRATCH_EN: 0
; COMPUTE_PGM_RSRC2:USER_SGPR: 15
; COMPUTE_PGM_RSRC2:TRAP_HANDLER: 0
; COMPUTE_PGM_RSRC2:TGID_X_EN: 1
; COMPUTE_PGM_RSRC2:TGID_Y_EN: 0
; COMPUTE_PGM_RSRC2:TGID_Z_EN: 0
; COMPUTE_PGM_RSRC2:TIDIG_COMP_CNT: 0
	.section	.text._ZN9rocsparseL22csrgemm_nnz_wf_per_rowILj128ELj4ELj32ELj79EiiEEvT4_PKS1_S3_PKT3_S3_S6_S3_S6_S3_PS4_21rocsparse_index_base_S8_S8_bb,"axG",@progbits,_ZN9rocsparseL22csrgemm_nnz_wf_per_rowILj128ELj4ELj32ELj79EiiEEvT4_PKS1_S3_PKT3_S3_S6_S3_S6_S3_PS4_21rocsparse_index_base_S8_S8_bb,comdat
	.globl	_ZN9rocsparseL22csrgemm_nnz_wf_per_rowILj128ELj4ELj32ELj79EiiEEvT4_PKS1_S3_PKT3_S3_S6_S3_S6_S3_PS4_21rocsparse_index_base_S8_S8_bb ; -- Begin function _ZN9rocsparseL22csrgemm_nnz_wf_per_rowILj128ELj4ELj32ELj79EiiEEvT4_PKS1_S3_PKT3_S3_S6_S3_S6_S3_PS4_21rocsparse_index_base_S8_S8_bb
	.p2align	8
	.type	_ZN9rocsparseL22csrgemm_nnz_wf_per_rowILj128ELj4ELj32ELj79EiiEEvT4_PKS1_S3_PKT3_S3_S6_S3_S6_S3_PS4_21rocsparse_index_base_S8_S8_bb,@function
_ZN9rocsparseL22csrgemm_nnz_wf_per_rowILj128ELj4ELj32ELj79EiiEEvT4_PKS1_S3_PKT3_S3_S6_S3_S6_S3_PS4_21rocsparse_index_base_S8_S8_bb: ; @_ZN9rocsparseL22csrgemm_nnz_wf_per_rowILj128ELj4ELj32ELj79EiiEEvT4_PKS1_S3_PKT3_S3_S6_S3_S6_S3_PS4_21rocsparse_index_base_S8_S8_bb
; %bb.0:
	s_clause 0x2
	s_load_b64 s[24:25], s[0:1], 0x48
	s_load_b256 s[16:23], s[0:1], 0x8
	s_load_b256 s[4:11], s[0:1], 0x28
	v_and_b32_e32 v5, 3, v0
	v_lshrrev_b32_e32 v1, 2, v0
	s_mov_b32 s2, 0
	s_delay_alu instid0(VALU_DEP_2) | instskip(SKIP_1) | instid1(VALU_DEP_2)
	v_dual_mov_b32 v3, -1 :: v_dual_lshlrev_b32 v2, 2, v5
	v_or_b32_e32 v0, -4, v5
	v_lshl_or_b32 v2, v1, 7, v2
.LBB3_1:                                ; =>This Inner Loop Header: Depth=1
	s_delay_alu instid0(VALU_DEP_2) | instskip(SKIP_4) | instid1(SALU_CYCLE_1)
	v_add_nc_u32_e32 v0, 4, v0
	ds_store_b32 v2, v3
	v_add_nc_u32_e32 v2, 16, v2
	v_cmp_lt_u32_e32 vcc_lo, 27, v0
	s_or_b32 s2, vcc_lo, s2
	s_and_not1_b32 exec_lo, exec_lo, s2
	s_cbranch_execnz .LBB3_1
; %bb.2:
	s_or_b32 exec_lo, exec_lo, s2
	s_load_b32 s2, s[0:1], 0x0
	s_lshl_b32 s3, s15, 5
	s_waitcnt lgkmcnt(0)
	buffer_gl0_inv
	v_and_or_b32 v0, 0x3fffffe0, s3, v1
	s_delay_alu instid0(VALU_DEP_1)
	v_cmp_gt_i32_e32 vcc_lo, s2, v0
	s_and_saveexec_b32 s2, vcc_lo
	s_cbranch_execz .LBB3_39
; %bb.3:
	s_cmp_eq_u64 s[18:19], 0
	s_cbranch_scc1 .LBB3_5
; %bb.4:
	s_load_b32 s2, s[16:17], 0x0
	s_waitcnt lgkmcnt(0)
	v_add_nc_u32_e32 v2, s2, v0
	s_delay_alu instid0(VALU_DEP_1) | instskip(NEXT) | instid1(VALU_DEP_1)
	v_ashrrev_i32_e32 v3, 31, v2
	v_lshlrev_b64 v[2:3], 2, v[2:3]
	s_delay_alu instid0(VALU_DEP_1) | instskip(NEXT) | instid1(VALU_DEP_2)
	v_add_co_u32 v2, vcc_lo, s18, v2
	v_add_co_ci_u32_e32 v3, vcc_lo, s19, v3, vcc_lo
	global_load_b32 v0, v[2:3], off
.LBB3_5:
	s_load_b128 s[12:15], s[0:1], 0x50
	v_dual_mov_b32 v6, 0 :: v_dual_lshlrev_b32 v7, 7, v1
	s_waitcnt vmcnt(0)
	v_ashrrev_i32_e32 v1, 31, v0
	s_waitcnt lgkmcnt(0)
	s_bitcmp0_b32 s15, 0
	s_cbranch_scc1 .LBB3_23
; %bb.6:
	s_delay_alu instid0(VALU_DEP_1) | instskip(SKIP_3) | instid1(VALU_DEP_3)
	v_lshlrev_b64 v[2:3], 2, v[0:1]
	v_subrev_nc_u32_e32 v4, s12, v5
	v_mov_b32_e32 v6, 0
	s_mov_b32 s3, exec_lo
	v_add_co_u32 v2, vcc_lo, s20, v2
	s_delay_alu instid0(VALU_DEP_4) | instskip(SKIP_4) | instid1(VALU_DEP_1)
	v_add_co_ci_u32_e32 v3, vcc_lo, s21, v3, vcc_lo
	global_load_b64 v[2:3], v[2:3], off
	s_waitcnt vmcnt(0)
	v_subrev_nc_u32_e32 v8, s12, v3
	v_add_nc_u32_e32 v2, v4, v2
	v_cmpx_lt_i32_e64 v2, v8
	s_cbranch_execz .LBB3_22
; %bb.7:
	v_dual_mov_b32 v6, 0 :: v_dual_mov_b32 v9, -1
	s_mov_b32 s15, 0
	s_branch .LBB3_10
.LBB3_8:                                ;   in Loop: Header=BB3_10 Depth=1
	s_or_b32 exec_lo, exec_lo, s17
.LBB3_9:                                ;   in Loop: Header=BB3_10 Depth=1
	s_delay_alu instid0(SALU_CYCLE_1) | instskip(SKIP_1) | instid1(VALU_DEP_1)
	s_or_b32 exec_lo, exec_lo, s16
	v_add_nc_u32_e32 v2, 4, v2
	v_cmp_ge_i32_e32 vcc_lo, v2, v8
	s_or_b32 s15, vcc_lo, s15
	s_delay_alu instid0(SALU_CYCLE_1)
	s_and_not1_b32 exec_lo, exec_lo, s15
	s_cbranch_execz .LBB3_21
.LBB3_10:                               ; =>This Loop Header: Depth=1
                                        ;     Child Loop BB3_13 Depth 2
                                        ;       Child Loop BB3_16 Depth 3
	v_ashrrev_i32_e32 v3, 31, v2
	s_mov_b32 s16, exec_lo
	s_delay_alu instid0(VALU_DEP_1) | instskip(NEXT) | instid1(VALU_DEP_1)
	v_lshlrev_b64 v[3:4], 2, v[2:3]
	v_add_co_u32 v3, vcc_lo, s22, v3
	s_delay_alu instid0(VALU_DEP_2) | instskip(SKIP_3) | instid1(VALU_DEP_1)
	v_add_co_ci_u32_e32 v4, vcc_lo, s23, v4, vcc_lo
	global_load_b32 v3, v[3:4], off
	s_waitcnt vmcnt(0)
	v_subrev_nc_u32_e32 v3, s12, v3
	v_ashrrev_i32_e32 v4, 31, v3
	s_delay_alu instid0(VALU_DEP_1) | instskip(NEXT) | instid1(VALU_DEP_1)
	v_lshlrev_b64 v[3:4], 2, v[3:4]
	v_add_co_u32 v3, vcc_lo, s4, v3
	s_delay_alu instid0(VALU_DEP_2)
	v_add_co_ci_u32_e32 v4, vcc_lo, s5, v4, vcc_lo
	global_load_b64 v[3:4], v[3:4], off
	s_waitcnt vmcnt(0)
	v_cmpx_lt_i32_e64 v3, v4
	s_cbranch_execz .LBB3_9
; %bb.11:                               ;   in Loop: Header=BB3_10 Depth=1
	v_subrev_nc_u32_e32 v10, s13, v4
	v_subrev_nc_u32_e32 v3, s13, v3
	s_mov_b32 s17, 0
	s_branch .LBB3_13
.LBB3_12:                               ;   in Loop: Header=BB3_13 Depth=2
	s_or_b32 exec_lo, exec_lo, s19
	v_add_nc_u32_e32 v3, 1, v3
	v_cndmask_b32_e64 v4, 0, 1, s18
	s_delay_alu instid0(VALU_DEP_2) | instskip(NEXT) | instid1(VALU_DEP_2)
	v_cmp_ge_i32_e32 vcc_lo, v3, v10
	v_add_nc_u32_e32 v6, v6, v4
	s_or_b32 s17, vcc_lo, s17
	s_delay_alu instid0(SALU_CYCLE_1)
	s_and_not1_b32 exec_lo, exec_lo, s17
	s_cbranch_execz .LBB3_8
.LBB3_13:                               ;   Parent Loop BB3_10 Depth=1
                                        ; =>  This Loop Header: Depth=2
                                        ;       Child Loop BB3_16 Depth 3
	s_delay_alu instid0(VALU_DEP_1) | instskip(SKIP_1) | instid1(VALU_DEP_1)
	v_ashrrev_i32_e32 v4, 31, v3
	s_mov_b32 s19, 0
                                        ; implicit-def: $sgpr18
                                        ; implicit-def: $sgpr20
                                        ; implicit-def: $sgpr21
                                        ; implicit-def: $sgpr26
	v_lshlrev_b64 v[11:12], 2, v[3:4]
	s_delay_alu instid0(VALU_DEP_1) | instskip(NEXT) | instid1(VALU_DEP_2)
	v_add_co_u32 v11, vcc_lo, s6, v11
	v_add_co_ci_u32_e32 v12, vcc_lo, s7, v12, vcc_lo
	global_load_b32 v4, v[11:12], off
	s_waitcnt vmcnt(0)
	v_subrev_nc_u32_e32 v4, s13, v4
	s_delay_alu instid0(VALU_DEP_1) | instskip(NEXT) | instid1(VALU_DEP_1)
	v_mul_lo_u32 v11, v4, 15
	v_and_b32_e32 v11, 31, v11
	s_branch .LBB3_16
.LBB3_14:                               ;   in Loop: Header=BB3_16 Depth=3
	s_or_b32 exec_lo, exec_lo, s30
	s_delay_alu instid0(SALU_CYCLE_1)
	s_and_not1_b32 s2, s21, exec_lo
	s_and_b32 s21, s28, exec_lo
	s_and_not1_b32 s20, s20, exec_lo
	s_and_b32 s26, s29, exec_lo
	s_or_b32 s21, s2, s21
	s_or_b32 s20, s20, s26
                                        ; implicit-def: $sgpr26
.LBB3_15:                               ;   in Loop: Header=BB3_16 Depth=3
	s_or_b32 exec_lo, exec_lo, s27
	s_xor_b32 s2, s20, -1
	s_delay_alu instid0(SALU_CYCLE_1) | instskip(NEXT) | instid1(SALU_CYCLE_1)
	s_and_b32 s2, exec_lo, s2
	s_or_b32 s19, s2, s19
	s_and_not1_b32 s2, s26, exec_lo
	s_and_b32 s27, s21, exec_lo
	s_and_not1_b32 s18, s18, exec_lo
	s_or_b32 s26, s2, s27
	s_or_b32 s18, s18, s27
	s_and_not1_b32 exec_lo, exec_lo, s19
	s_cbranch_execz .LBB3_12
.LBB3_16:                               ;   Parent Loop BB3_10 Depth=1
                                        ;     Parent Loop BB3_13 Depth=2
                                        ; =>    This Inner Loop Header: Depth=3
	s_delay_alu instid0(VALU_DEP_1)
	v_lshl_add_u32 v12, v11, 2, v7
	s_and_not1_b32 s21, s21, exec_lo
	s_and_not1_b32 s20, s20, exec_lo
	s_mov_b32 s27, exec_lo
	ds_load_b32 v13, v12
	s_waitcnt lgkmcnt(0)
	v_cmpx_ne_u32_e64 v13, v4
	s_cbranch_execz .LBB3_15
; %bb.17:                               ;   in Loop: Header=BB3_16 Depth=3
	s_mov_b32 s2, exec_lo
                                        ; implicit-def: $sgpr28
                                        ; implicit-def: $sgpr29
	v_cmpx_ne_u32_e32 -1, v13
	s_xor_b32 s2, exec_lo, s2
; %bb.18:                               ;   in Loop: Header=BB3_16 Depth=3
	v_add_nc_u32_e32 v11, 1, v11
	s_mov_b32 s29, -1
	s_and_b32 s28, s26, exec_lo
                                        ; implicit-def: $vgpr12
	s_delay_alu instid0(VALU_DEP_1)
	v_and_b32_e32 v11, 31, v11
; %bb.19:                               ;   in Loop: Header=BB3_16 Depth=3
	s_and_not1_saveexec_b32 s30, s2
	s_cbranch_execz .LBB3_14
; %bb.20:                               ;   in Loop: Header=BB3_16 Depth=3
	ds_cmpstore_rtn_b32 v12, v12, v4, v9
	s_and_not1_b32 s29, s29, exec_lo
	s_and_not1_b32 s28, s28, exec_lo
	s_waitcnt lgkmcnt(0)
	v_cmp_eq_u32_e32 vcc_lo, -1, v12
	v_cmp_ne_u32_e64 s2, -1, v12
	s_or_b32 s26, vcc_lo, s26
	s_delay_alu instid0(VALU_DEP_1)
	s_and_b32 s2, s2, exec_lo
	s_and_b32 s26, s26, exec_lo
	s_or_b32 s29, s29, s2
	s_or_b32 s28, s28, s26
	s_branch .LBB3_14
.LBB3_21:
	s_or_b32 exec_lo, exec_lo, s15
.LBB3_22:
	s_delay_alu instid0(SALU_CYCLE_1)
	s_or_b32 exec_lo, exec_lo, s3
.LBB3_23:
	s_load_b32 s0, s[0:1], 0x5c
	s_waitcnt lgkmcnt(0)
	s_bfe_u32 s0, s0, 0x10008
	s_delay_alu instid0(SALU_CYCLE_1)
	s_cmp_eq_u32 s0, 0
	s_cbranch_scc1 .LBB3_37
; %bb.24:
	v_lshlrev_b64 v[2:3], 2, v[0:1]
	v_subrev_nc_u32_e32 v8, s14, v5
	s_mov_b32 s1, exec_lo
	s_delay_alu instid0(VALU_DEP_2) | instskip(NEXT) | instid1(VALU_DEP_3)
	v_add_co_u32 v2, vcc_lo, s8, v2
	v_add_co_ci_u32_e32 v3, vcc_lo, s9, v3, vcc_lo
	global_load_b64 v[2:3], v[2:3], off
	s_waitcnt vmcnt(0)
	v_subrev_nc_u32_e32 v4, s14, v3
	v_add_nc_u32_e32 v2, v8, v2
	s_delay_alu instid0(VALU_DEP_1)
	v_cmpx_lt_i32_e64 v2, v4
	s_cbranch_execz .LBB3_36
; %bb.25:
	v_mov_b32_e32 v8, -1
	s_mov_b32 s2, 0
	s_branch .LBB3_27
.LBB3_26:                               ;   in Loop: Header=BB3_27 Depth=1
	s_or_b32 exec_lo, exec_lo, s4
	v_add_nc_u32_e32 v2, 4, v2
	v_cndmask_b32_e64 v3, 0, 1, s3
	s_delay_alu instid0(VALU_DEP_2) | instskip(NEXT) | instid1(VALU_DEP_2)
	v_cmp_ge_i32_e32 vcc_lo, v2, v4
	v_add_nc_u32_e32 v6, v6, v3
	s_or_b32 s2, vcc_lo, s2
	s_delay_alu instid0(SALU_CYCLE_1)
	s_and_not1_b32 exec_lo, exec_lo, s2
	s_cbranch_execz .LBB3_35
.LBB3_27:                               ; =>This Loop Header: Depth=1
                                        ;     Child Loop BB3_30 Depth 2
	v_ashrrev_i32_e32 v3, 31, v2
	s_mov_b32 s4, 0
                                        ; implicit-def: $sgpr3
                                        ; implicit-def: $sgpr5
                                        ; implicit-def: $sgpr6
                                        ; implicit-def: $sgpr7
	s_delay_alu instid0(VALU_DEP_1) | instskip(NEXT) | instid1(VALU_DEP_1)
	v_lshlrev_b64 v[9:10], 2, v[2:3]
	v_add_co_u32 v9, vcc_lo, s10, v9
	s_delay_alu instid0(VALU_DEP_2) | instskip(SKIP_3) | instid1(VALU_DEP_1)
	v_add_co_ci_u32_e32 v10, vcc_lo, s11, v10, vcc_lo
	global_load_b32 v3, v[9:10], off
	s_waitcnt vmcnt(0)
	v_subrev_nc_u32_e32 v3, s14, v3
	v_mul_lo_u32 v9, v3, 15
	s_delay_alu instid0(VALU_DEP_1)
	v_and_b32_e32 v9, 31, v9
	s_branch .LBB3_30
.LBB3_28:                               ;   in Loop: Header=BB3_30 Depth=2
	s_or_b32 exec_lo, exec_lo, s13
	s_delay_alu instid0(SALU_CYCLE_1)
	s_and_not1_b32 s0, s6, exec_lo
	s_and_b32 s6, s9, exec_lo
	s_and_not1_b32 s5, s5, exec_lo
	s_and_b32 s7, s12, exec_lo
	s_or_b32 s6, s0, s6
	s_or_b32 s5, s5, s7
                                        ; implicit-def: $sgpr7
.LBB3_29:                               ;   in Loop: Header=BB3_30 Depth=2
	s_or_b32 exec_lo, exec_lo, s8
	s_xor_b32 s0, s5, -1
	s_delay_alu instid0(SALU_CYCLE_1) | instskip(NEXT) | instid1(SALU_CYCLE_1)
	s_and_b32 s0, exec_lo, s0
	s_or_b32 s4, s0, s4
	s_and_not1_b32 s0, s7, exec_lo
	s_and_b32 s8, s6, exec_lo
	s_and_not1_b32 s3, s3, exec_lo
	s_or_b32 s7, s0, s8
	s_or_b32 s3, s3, s8
	s_and_not1_b32 exec_lo, exec_lo, s4
	s_cbranch_execz .LBB3_26
.LBB3_30:                               ;   Parent Loop BB3_27 Depth=1
                                        ; =>  This Inner Loop Header: Depth=2
	s_delay_alu instid0(VALU_DEP_1)
	v_lshl_add_u32 v10, v9, 2, v7
	s_and_not1_b32 s6, s6, exec_lo
	s_and_not1_b32 s5, s5, exec_lo
	s_mov_b32 s8, exec_lo
	ds_load_b32 v11, v10
	s_waitcnt lgkmcnt(0)
	v_cmpx_ne_u32_e64 v11, v3
	s_cbranch_execz .LBB3_29
; %bb.31:                               ;   in Loop: Header=BB3_30 Depth=2
	s_mov_b32 s0, exec_lo
                                        ; implicit-def: $sgpr9
                                        ; implicit-def: $sgpr12
	v_cmpx_ne_u32_e32 -1, v11
	s_xor_b32 s0, exec_lo, s0
; %bb.32:                               ;   in Loop: Header=BB3_30 Depth=2
	v_add_nc_u32_e32 v9, 1, v9
	s_mov_b32 s12, -1
	s_and_b32 s9, s7, exec_lo
                                        ; implicit-def: $vgpr10
	s_delay_alu instid0(VALU_DEP_1)
	v_and_b32_e32 v9, 31, v9
; %bb.33:                               ;   in Loop: Header=BB3_30 Depth=2
	s_and_not1_saveexec_b32 s13, s0
	s_cbranch_execz .LBB3_28
; %bb.34:                               ;   in Loop: Header=BB3_30 Depth=2
	ds_cmpstore_rtn_b32 v10, v10, v3, v8
	s_and_not1_b32 s12, s12, exec_lo
	s_and_not1_b32 s9, s9, exec_lo
	s_waitcnt lgkmcnt(0)
	v_cmp_eq_u32_e32 vcc_lo, -1, v10
	v_cmp_ne_u32_e64 s0, -1, v10
	s_or_b32 s7, vcc_lo, s7
	s_delay_alu instid0(VALU_DEP_1)
	s_and_b32 s0, s0, exec_lo
	s_and_b32 s7, s7, exec_lo
	s_or_b32 s12, s12, s0
	s_or_b32 s9, s9, s7
	s_branch .LBB3_28
.LBB3_35:
	s_or_b32 exec_lo, exec_lo, s2
.LBB3_36:
	s_delay_alu instid0(SALU_CYCLE_1)
	s_or_b32 exec_lo, exec_lo, s1
.LBB3_37:
	v_mbcnt_lo_u32_b32 v2, -1, 0
	s_delay_alu instid0(VALU_DEP_1) | instskip(SKIP_1) | instid1(VALU_DEP_2)
	v_xor_b32_e32 v3, 2, v2
	v_xor_b32_e32 v4, 1, v2
	v_cmp_gt_i32_e32 vcc_lo, 32, v3
	v_cndmask_b32_e32 v3, v2, v3, vcc_lo
	s_delay_alu instid0(VALU_DEP_3) | instskip(NEXT) | instid1(VALU_DEP_2)
	v_cmp_gt_i32_e32 vcc_lo, 32, v4
	v_dual_cndmask_b32 v4, v2, v4 :: v_dual_lshlrev_b32 v3, 2, v3
	v_cmp_eq_u32_e32 vcc_lo, 3, v5
	ds_bpermute_b32 v3, v3, v6
	s_waitcnt lgkmcnt(0)
	v_add_nc_u32_e32 v2, v3, v6
	v_lshlrev_b32_e32 v3, 2, v4
	ds_bpermute_b32 v3, v3, v2
	s_and_b32 exec_lo, exec_lo, vcc_lo
	s_cbranch_execz .LBB3_39
; %bb.38:
	v_lshlrev_b64 v[0:1], 2, v[0:1]
	s_waitcnt lgkmcnt(0)
	v_add_nc_u32_e32 v2, v3, v2
	s_delay_alu instid0(VALU_DEP_2) | instskip(NEXT) | instid1(VALU_DEP_3)
	v_add_co_u32 v0, vcc_lo, s24, v0
	v_add_co_ci_u32_e32 v1, vcc_lo, s25, v1, vcc_lo
	global_store_b32 v[0:1], v2, off
.LBB3_39:
	s_nop 0
	s_sendmsg sendmsg(MSG_DEALLOC_VGPRS)
	s_endpgm
	.section	.rodata,"a",@progbits
	.p2align	6, 0x0
	.amdhsa_kernel _ZN9rocsparseL22csrgemm_nnz_wf_per_rowILj128ELj4ELj32ELj79EiiEEvT4_PKS1_S3_PKT3_S3_S6_S3_S6_S3_PS4_21rocsparse_index_base_S8_S8_bb
		.amdhsa_group_segment_fixed_size 4096
		.amdhsa_private_segment_fixed_size 0
		.amdhsa_kernarg_size 96
		.amdhsa_user_sgpr_count 15
		.amdhsa_user_sgpr_dispatch_ptr 0
		.amdhsa_user_sgpr_queue_ptr 0
		.amdhsa_user_sgpr_kernarg_segment_ptr 1
		.amdhsa_user_sgpr_dispatch_id 0
		.amdhsa_user_sgpr_private_segment_size 0
		.amdhsa_wavefront_size32 1
		.amdhsa_uses_dynamic_stack 0
		.amdhsa_enable_private_segment 0
		.amdhsa_system_sgpr_workgroup_id_x 1
		.amdhsa_system_sgpr_workgroup_id_y 0
		.amdhsa_system_sgpr_workgroup_id_z 0
		.amdhsa_system_sgpr_workgroup_info 0
		.amdhsa_system_vgpr_workitem_id 0
		.amdhsa_next_free_vgpr 14
		.amdhsa_next_free_sgpr 31
		.amdhsa_reserve_vcc 1
		.amdhsa_float_round_mode_32 0
		.amdhsa_float_round_mode_16_64 0
		.amdhsa_float_denorm_mode_32 3
		.amdhsa_float_denorm_mode_16_64 3
		.amdhsa_dx10_clamp 1
		.amdhsa_ieee_mode 1
		.amdhsa_fp16_overflow 0
		.amdhsa_workgroup_processor_mode 1
		.amdhsa_memory_ordered 1
		.amdhsa_forward_progress 0
		.amdhsa_shared_vgpr_count 0
		.amdhsa_exception_fp_ieee_invalid_op 0
		.amdhsa_exception_fp_denorm_src 0
		.amdhsa_exception_fp_ieee_div_zero 0
		.amdhsa_exception_fp_ieee_overflow 0
		.amdhsa_exception_fp_ieee_underflow 0
		.amdhsa_exception_fp_ieee_inexact 0
		.amdhsa_exception_int_div_zero 0
	.end_amdhsa_kernel
	.section	.text._ZN9rocsparseL22csrgemm_nnz_wf_per_rowILj128ELj4ELj32ELj79EiiEEvT4_PKS1_S3_PKT3_S3_S6_S3_S6_S3_PS4_21rocsparse_index_base_S8_S8_bb,"axG",@progbits,_ZN9rocsparseL22csrgemm_nnz_wf_per_rowILj128ELj4ELj32ELj79EiiEEvT4_PKS1_S3_PKT3_S3_S6_S3_S6_S3_PS4_21rocsparse_index_base_S8_S8_bb,comdat
.Lfunc_end3:
	.size	_ZN9rocsparseL22csrgemm_nnz_wf_per_rowILj128ELj4ELj32ELj79EiiEEvT4_PKS1_S3_PKT3_S3_S6_S3_S6_S3_PS4_21rocsparse_index_base_S8_S8_bb, .Lfunc_end3-_ZN9rocsparseL22csrgemm_nnz_wf_per_rowILj128ELj4ELj32ELj79EiiEEvT4_PKS1_S3_PKT3_S3_S6_S3_S6_S3_PS4_21rocsparse_index_base_S8_S8_bb
                                        ; -- End function
	.section	.AMDGPU.csdata,"",@progbits
; Kernel info:
; codeLenInByte = 1464
; NumSgprs: 33
; NumVgprs: 14
; ScratchSize: 0
; MemoryBound: 0
; FloatMode: 240
; IeeeMode: 1
; LDSByteSize: 4096 bytes/workgroup (compile time only)
; SGPRBlocks: 4
; VGPRBlocks: 1
; NumSGPRsForWavesPerEU: 33
; NumVGPRsForWavesPerEU: 14
; Occupancy: 16
; WaveLimiterHint : 1
; COMPUTE_PGM_RSRC2:SCRATCH_EN: 0
; COMPUTE_PGM_RSRC2:USER_SGPR: 15
; COMPUTE_PGM_RSRC2:TRAP_HANDLER: 0
; COMPUTE_PGM_RSRC2:TGID_X_EN: 1
; COMPUTE_PGM_RSRC2:TGID_Y_EN: 0
; COMPUTE_PGM_RSRC2:TGID_Z_EN: 0
; COMPUTE_PGM_RSRC2:TIDIG_COMP_CNT: 0
	.section	.text._ZN9rocsparseL22csrgemm_nnz_wf_per_rowILj256ELj8ELj64ELj79EiiEEvT4_PKS1_S3_PKT3_S3_S6_S3_S6_S3_PS4_21rocsparse_index_base_S8_S8_bb,"axG",@progbits,_ZN9rocsparseL22csrgemm_nnz_wf_per_rowILj256ELj8ELj64ELj79EiiEEvT4_PKS1_S3_PKT3_S3_S6_S3_S6_S3_PS4_21rocsparse_index_base_S8_S8_bb,comdat
	.globl	_ZN9rocsparseL22csrgemm_nnz_wf_per_rowILj256ELj8ELj64ELj79EiiEEvT4_PKS1_S3_PKT3_S3_S6_S3_S6_S3_PS4_21rocsparse_index_base_S8_S8_bb ; -- Begin function _ZN9rocsparseL22csrgemm_nnz_wf_per_rowILj256ELj8ELj64ELj79EiiEEvT4_PKS1_S3_PKT3_S3_S6_S3_S6_S3_PS4_21rocsparse_index_base_S8_S8_bb
	.p2align	8
	.type	_ZN9rocsparseL22csrgemm_nnz_wf_per_rowILj256ELj8ELj64ELj79EiiEEvT4_PKS1_S3_PKT3_S3_S6_S3_S6_S3_PS4_21rocsparse_index_base_S8_S8_bb,@function
_ZN9rocsparseL22csrgemm_nnz_wf_per_rowILj256ELj8ELj64ELj79EiiEEvT4_PKS1_S3_PKT3_S3_S6_S3_S6_S3_PS4_21rocsparse_index_base_S8_S8_bb: ; @_ZN9rocsparseL22csrgemm_nnz_wf_per_rowILj256ELj8ELj64ELj79EiiEEvT4_PKS1_S3_PKT3_S3_S6_S3_S6_S3_PS4_21rocsparse_index_base_S8_S8_bb
; %bb.0:
	s_clause 0x2
	s_load_b64 s[24:25], s[0:1], 0x48
	s_load_b256 s[16:23], s[0:1], 0x8
	s_load_b256 s[4:11], s[0:1], 0x28
	v_and_b32_e32 v5, 7, v0
	v_lshrrev_b32_e32 v1, 3, v0
	s_mov_b32 s2, 0
	s_delay_alu instid0(VALU_DEP_2) | instskip(SKIP_1) | instid1(VALU_DEP_2)
	v_dual_mov_b32 v3, -1 :: v_dual_lshlrev_b32 v2, 2, v5
	v_or_b32_e32 v0, -8, v5
	v_lshl_or_b32 v2, v1, 8, v2
.LBB4_1:                                ; =>This Inner Loop Header: Depth=1
	s_delay_alu instid0(VALU_DEP_2) | instskip(SKIP_4) | instid1(SALU_CYCLE_1)
	v_add_nc_u32_e32 v0, 8, v0
	ds_store_b32 v2, v3
	v_add_nc_u32_e32 v2, 32, v2
	v_cmp_lt_u32_e32 vcc_lo, 55, v0
	s_or_b32 s2, vcc_lo, s2
	s_and_not1_b32 exec_lo, exec_lo, s2
	s_cbranch_execnz .LBB4_1
; %bb.2:
	s_or_b32 exec_lo, exec_lo, s2
	s_load_b32 s2, s[0:1], 0x0
	s_lshl_b32 s3, s15, 5
	s_waitcnt lgkmcnt(0)
	buffer_gl0_inv
	v_and_or_b32 v0, 0x1fffffe0, s3, v1
	s_delay_alu instid0(VALU_DEP_1)
	v_cmp_gt_i32_e32 vcc_lo, s2, v0
	s_and_saveexec_b32 s2, vcc_lo
	s_cbranch_execz .LBB4_39
; %bb.3:
	s_cmp_eq_u64 s[18:19], 0
	s_cbranch_scc1 .LBB4_5
; %bb.4:
	s_load_b32 s2, s[16:17], 0x0
	s_waitcnt lgkmcnt(0)
	v_add_nc_u32_e32 v2, s2, v0
	s_delay_alu instid0(VALU_DEP_1) | instskip(NEXT) | instid1(VALU_DEP_1)
	v_ashrrev_i32_e32 v3, 31, v2
	v_lshlrev_b64 v[2:3], 2, v[2:3]
	s_delay_alu instid0(VALU_DEP_1) | instskip(NEXT) | instid1(VALU_DEP_2)
	v_add_co_u32 v2, vcc_lo, s18, v2
	v_add_co_ci_u32_e32 v3, vcc_lo, s19, v3, vcc_lo
	global_load_b32 v0, v[2:3], off
.LBB4_5:
	s_load_b128 s[12:15], s[0:1], 0x50
	v_dual_mov_b32 v6, 0 :: v_dual_lshlrev_b32 v7, 8, v1
	s_waitcnt vmcnt(0)
	v_ashrrev_i32_e32 v1, 31, v0
	s_waitcnt lgkmcnt(0)
	s_bitcmp0_b32 s15, 0
	s_cbranch_scc1 .LBB4_23
; %bb.6:
	s_delay_alu instid0(VALU_DEP_1) | instskip(SKIP_3) | instid1(VALU_DEP_3)
	v_lshlrev_b64 v[2:3], 2, v[0:1]
	v_subrev_nc_u32_e32 v4, s12, v5
	v_mov_b32_e32 v6, 0
	s_mov_b32 s3, exec_lo
	v_add_co_u32 v2, vcc_lo, s20, v2
	s_delay_alu instid0(VALU_DEP_4) | instskip(SKIP_4) | instid1(VALU_DEP_1)
	v_add_co_ci_u32_e32 v3, vcc_lo, s21, v3, vcc_lo
	global_load_b64 v[2:3], v[2:3], off
	s_waitcnt vmcnt(0)
	v_subrev_nc_u32_e32 v8, s12, v3
	v_add_nc_u32_e32 v2, v4, v2
	v_cmpx_lt_i32_e64 v2, v8
	s_cbranch_execz .LBB4_22
; %bb.7:
	v_dual_mov_b32 v6, 0 :: v_dual_mov_b32 v9, -1
	s_mov_b32 s15, 0
	s_branch .LBB4_10
.LBB4_8:                                ;   in Loop: Header=BB4_10 Depth=1
	s_or_b32 exec_lo, exec_lo, s17
.LBB4_9:                                ;   in Loop: Header=BB4_10 Depth=1
	s_delay_alu instid0(SALU_CYCLE_1) | instskip(SKIP_1) | instid1(VALU_DEP_1)
	s_or_b32 exec_lo, exec_lo, s16
	v_add_nc_u32_e32 v2, 8, v2
	v_cmp_ge_i32_e32 vcc_lo, v2, v8
	s_or_b32 s15, vcc_lo, s15
	s_delay_alu instid0(SALU_CYCLE_1)
	s_and_not1_b32 exec_lo, exec_lo, s15
	s_cbranch_execz .LBB4_21
.LBB4_10:                               ; =>This Loop Header: Depth=1
                                        ;     Child Loop BB4_13 Depth 2
                                        ;       Child Loop BB4_16 Depth 3
	v_ashrrev_i32_e32 v3, 31, v2
	s_mov_b32 s16, exec_lo
	s_delay_alu instid0(VALU_DEP_1) | instskip(NEXT) | instid1(VALU_DEP_1)
	v_lshlrev_b64 v[3:4], 2, v[2:3]
	v_add_co_u32 v3, vcc_lo, s22, v3
	s_delay_alu instid0(VALU_DEP_2) | instskip(SKIP_3) | instid1(VALU_DEP_1)
	v_add_co_ci_u32_e32 v4, vcc_lo, s23, v4, vcc_lo
	global_load_b32 v3, v[3:4], off
	s_waitcnt vmcnt(0)
	v_subrev_nc_u32_e32 v3, s12, v3
	v_ashrrev_i32_e32 v4, 31, v3
	s_delay_alu instid0(VALU_DEP_1) | instskip(NEXT) | instid1(VALU_DEP_1)
	v_lshlrev_b64 v[3:4], 2, v[3:4]
	v_add_co_u32 v3, vcc_lo, s4, v3
	s_delay_alu instid0(VALU_DEP_2)
	v_add_co_ci_u32_e32 v4, vcc_lo, s5, v4, vcc_lo
	global_load_b64 v[3:4], v[3:4], off
	s_waitcnt vmcnt(0)
	v_cmpx_lt_i32_e64 v3, v4
	s_cbranch_execz .LBB4_9
; %bb.11:                               ;   in Loop: Header=BB4_10 Depth=1
	v_subrev_nc_u32_e32 v10, s13, v4
	v_subrev_nc_u32_e32 v3, s13, v3
	s_mov_b32 s17, 0
	s_branch .LBB4_13
.LBB4_12:                               ;   in Loop: Header=BB4_13 Depth=2
	s_or_b32 exec_lo, exec_lo, s19
	v_add_nc_u32_e32 v3, 1, v3
	v_cndmask_b32_e64 v4, 0, 1, s18
	s_delay_alu instid0(VALU_DEP_2) | instskip(NEXT) | instid1(VALU_DEP_2)
	v_cmp_ge_i32_e32 vcc_lo, v3, v10
	v_add_nc_u32_e32 v6, v6, v4
	s_or_b32 s17, vcc_lo, s17
	s_delay_alu instid0(SALU_CYCLE_1)
	s_and_not1_b32 exec_lo, exec_lo, s17
	s_cbranch_execz .LBB4_8
.LBB4_13:                               ;   Parent Loop BB4_10 Depth=1
                                        ; =>  This Loop Header: Depth=2
                                        ;       Child Loop BB4_16 Depth 3
	s_delay_alu instid0(VALU_DEP_1) | instskip(SKIP_1) | instid1(VALU_DEP_1)
	v_ashrrev_i32_e32 v4, 31, v3
	s_mov_b32 s19, 0
                                        ; implicit-def: $sgpr18
                                        ; implicit-def: $sgpr20
                                        ; implicit-def: $sgpr21
                                        ; implicit-def: $sgpr26
	v_lshlrev_b64 v[11:12], 2, v[3:4]
	s_delay_alu instid0(VALU_DEP_1) | instskip(NEXT) | instid1(VALU_DEP_2)
	v_add_co_u32 v11, vcc_lo, s6, v11
	v_add_co_ci_u32_e32 v12, vcc_lo, s7, v12, vcc_lo
	global_load_b32 v4, v[11:12], off
	s_waitcnt vmcnt(0)
	v_subrev_nc_u32_e32 v4, s13, v4
	s_delay_alu instid0(VALU_DEP_1) | instskip(NEXT) | instid1(VALU_DEP_1)
	v_mul_lo_u32 v11, v4, 15
	v_and_b32_e32 v11, 63, v11
	s_branch .LBB4_16
.LBB4_14:                               ;   in Loop: Header=BB4_16 Depth=3
	s_or_b32 exec_lo, exec_lo, s30
	s_delay_alu instid0(SALU_CYCLE_1)
	s_and_not1_b32 s2, s21, exec_lo
	s_and_b32 s21, s28, exec_lo
	s_and_not1_b32 s20, s20, exec_lo
	s_and_b32 s26, s29, exec_lo
	s_or_b32 s21, s2, s21
	s_or_b32 s20, s20, s26
                                        ; implicit-def: $sgpr26
.LBB4_15:                               ;   in Loop: Header=BB4_16 Depth=3
	s_or_b32 exec_lo, exec_lo, s27
	s_xor_b32 s2, s20, -1
	s_delay_alu instid0(SALU_CYCLE_1) | instskip(NEXT) | instid1(SALU_CYCLE_1)
	s_and_b32 s2, exec_lo, s2
	s_or_b32 s19, s2, s19
	s_and_not1_b32 s2, s26, exec_lo
	s_and_b32 s27, s21, exec_lo
	s_and_not1_b32 s18, s18, exec_lo
	s_or_b32 s26, s2, s27
	s_or_b32 s18, s18, s27
	s_and_not1_b32 exec_lo, exec_lo, s19
	s_cbranch_execz .LBB4_12
.LBB4_16:                               ;   Parent Loop BB4_10 Depth=1
                                        ;     Parent Loop BB4_13 Depth=2
                                        ; =>    This Inner Loop Header: Depth=3
	s_delay_alu instid0(VALU_DEP_1)
	v_lshl_add_u32 v12, v11, 2, v7
	s_and_not1_b32 s21, s21, exec_lo
	s_and_not1_b32 s20, s20, exec_lo
	s_mov_b32 s27, exec_lo
	ds_load_b32 v13, v12
	s_waitcnt lgkmcnt(0)
	v_cmpx_ne_u32_e64 v13, v4
	s_cbranch_execz .LBB4_15
; %bb.17:                               ;   in Loop: Header=BB4_16 Depth=3
	s_mov_b32 s2, exec_lo
                                        ; implicit-def: $sgpr28
                                        ; implicit-def: $sgpr29
	v_cmpx_ne_u32_e32 -1, v13
	s_xor_b32 s2, exec_lo, s2
; %bb.18:                               ;   in Loop: Header=BB4_16 Depth=3
	v_add_nc_u32_e32 v11, 1, v11
	s_mov_b32 s29, -1
	s_and_b32 s28, s26, exec_lo
                                        ; implicit-def: $vgpr12
	s_delay_alu instid0(VALU_DEP_1)
	v_and_b32_e32 v11, 63, v11
; %bb.19:                               ;   in Loop: Header=BB4_16 Depth=3
	s_and_not1_saveexec_b32 s30, s2
	s_cbranch_execz .LBB4_14
; %bb.20:                               ;   in Loop: Header=BB4_16 Depth=3
	ds_cmpstore_rtn_b32 v12, v12, v4, v9
	s_and_not1_b32 s29, s29, exec_lo
	s_and_not1_b32 s28, s28, exec_lo
	s_waitcnt lgkmcnt(0)
	v_cmp_eq_u32_e32 vcc_lo, -1, v12
	v_cmp_ne_u32_e64 s2, -1, v12
	s_or_b32 s26, vcc_lo, s26
	s_delay_alu instid0(VALU_DEP_1)
	s_and_b32 s2, s2, exec_lo
	s_and_b32 s26, s26, exec_lo
	s_or_b32 s29, s29, s2
	s_or_b32 s28, s28, s26
	s_branch .LBB4_14
.LBB4_21:
	s_or_b32 exec_lo, exec_lo, s15
.LBB4_22:
	s_delay_alu instid0(SALU_CYCLE_1)
	s_or_b32 exec_lo, exec_lo, s3
.LBB4_23:
	s_load_b32 s0, s[0:1], 0x5c
	s_waitcnt lgkmcnt(0)
	s_bfe_u32 s0, s0, 0x10008
	s_delay_alu instid0(SALU_CYCLE_1)
	s_cmp_eq_u32 s0, 0
	s_cbranch_scc1 .LBB4_37
; %bb.24:
	v_lshlrev_b64 v[2:3], 2, v[0:1]
	v_subrev_nc_u32_e32 v8, s14, v5
	s_mov_b32 s1, exec_lo
	s_delay_alu instid0(VALU_DEP_2) | instskip(NEXT) | instid1(VALU_DEP_3)
	v_add_co_u32 v2, vcc_lo, s8, v2
	v_add_co_ci_u32_e32 v3, vcc_lo, s9, v3, vcc_lo
	global_load_b64 v[2:3], v[2:3], off
	s_waitcnt vmcnt(0)
	v_subrev_nc_u32_e32 v4, s14, v3
	v_add_nc_u32_e32 v2, v8, v2
	s_delay_alu instid0(VALU_DEP_1)
	v_cmpx_lt_i32_e64 v2, v4
	s_cbranch_execz .LBB4_36
; %bb.25:
	v_mov_b32_e32 v8, -1
	s_mov_b32 s2, 0
	s_branch .LBB4_27
.LBB4_26:                               ;   in Loop: Header=BB4_27 Depth=1
	s_or_b32 exec_lo, exec_lo, s4
	v_add_nc_u32_e32 v2, 8, v2
	v_cndmask_b32_e64 v3, 0, 1, s3
	s_delay_alu instid0(VALU_DEP_2) | instskip(NEXT) | instid1(VALU_DEP_2)
	v_cmp_ge_i32_e32 vcc_lo, v2, v4
	v_add_nc_u32_e32 v6, v6, v3
	s_or_b32 s2, vcc_lo, s2
	s_delay_alu instid0(SALU_CYCLE_1)
	s_and_not1_b32 exec_lo, exec_lo, s2
	s_cbranch_execz .LBB4_35
.LBB4_27:                               ; =>This Loop Header: Depth=1
                                        ;     Child Loop BB4_30 Depth 2
	v_ashrrev_i32_e32 v3, 31, v2
	s_mov_b32 s4, 0
                                        ; implicit-def: $sgpr3
                                        ; implicit-def: $sgpr5
                                        ; implicit-def: $sgpr6
                                        ; implicit-def: $sgpr7
	s_delay_alu instid0(VALU_DEP_1) | instskip(NEXT) | instid1(VALU_DEP_1)
	v_lshlrev_b64 v[9:10], 2, v[2:3]
	v_add_co_u32 v9, vcc_lo, s10, v9
	s_delay_alu instid0(VALU_DEP_2) | instskip(SKIP_3) | instid1(VALU_DEP_1)
	v_add_co_ci_u32_e32 v10, vcc_lo, s11, v10, vcc_lo
	global_load_b32 v3, v[9:10], off
	s_waitcnt vmcnt(0)
	v_subrev_nc_u32_e32 v3, s14, v3
	v_mul_lo_u32 v9, v3, 15
	s_delay_alu instid0(VALU_DEP_1)
	v_and_b32_e32 v9, 63, v9
	s_branch .LBB4_30
.LBB4_28:                               ;   in Loop: Header=BB4_30 Depth=2
	s_or_b32 exec_lo, exec_lo, s13
	s_delay_alu instid0(SALU_CYCLE_1)
	s_and_not1_b32 s0, s6, exec_lo
	s_and_b32 s6, s9, exec_lo
	s_and_not1_b32 s5, s5, exec_lo
	s_and_b32 s7, s12, exec_lo
	s_or_b32 s6, s0, s6
	s_or_b32 s5, s5, s7
                                        ; implicit-def: $sgpr7
.LBB4_29:                               ;   in Loop: Header=BB4_30 Depth=2
	s_or_b32 exec_lo, exec_lo, s8
	s_xor_b32 s0, s5, -1
	s_delay_alu instid0(SALU_CYCLE_1) | instskip(NEXT) | instid1(SALU_CYCLE_1)
	s_and_b32 s0, exec_lo, s0
	s_or_b32 s4, s0, s4
	s_and_not1_b32 s0, s7, exec_lo
	s_and_b32 s8, s6, exec_lo
	s_and_not1_b32 s3, s3, exec_lo
	s_or_b32 s7, s0, s8
	s_or_b32 s3, s3, s8
	s_and_not1_b32 exec_lo, exec_lo, s4
	s_cbranch_execz .LBB4_26
.LBB4_30:                               ;   Parent Loop BB4_27 Depth=1
                                        ; =>  This Inner Loop Header: Depth=2
	s_delay_alu instid0(VALU_DEP_1)
	v_lshl_add_u32 v10, v9, 2, v7
	s_and_not1_b32 s6, s6, exec_lo
	s_and_not1_b32 s5, s5, exec_lo
	s_mov_b32 s8, exec_lo
	ds_load_b32 v11, v10
	s_waitcnt lgkmcnt(0)
	v_cmpx_ne_u32_e64 v11, v3
	s_cbranch_execz .LBB4_29
; %bb.31:                               ;   in Loop: Header=BB4_30 Depth=2
	s_mov_b32 s0, exec_lo
                                        ; implicit-def: $sgpr9
                                        ; implicit-def: $sgpr12
	v_cmpx_ne_u32_e32 -1, v11
	s_xor_b32 s0, exec_lo, s0
; %bb.32:                               ;   in Loop: Header=BB4_30 Depth=2
	v_add_nc_u32_e32 v9, 1, v9
	s_mov_b32 s12, -1
	s_and_b32 s9, s7, exec_lo
                                        ; implicit-def: $vgpr10
	s_delay_alu instid0(VALU_DEP_1)
	v_and_b32_e32 v9, 63, v9
; %bb.33:                               ;   in Loop: Header=BB4_30 Depth=2
	s_and_not1_saveexec_b32 s13, s0
	s_cbranch_execz .LBB4_28
; %bb.34:                               ;   in Loop: Header=BB4_30 Depth=2
	ds_cmpstore_rtn_b32 v10, v10, v3, v8
	s_and_not1_b32 s12, s12, exec_lo
	s_and_not1_b32 s9, s9, exec_lo
	s_waitcnt lgkmcnt(0)
	v_cmp_eq_u32_e32 vcc_lo, -1, v10
	v_cmp_ne_u32_e64 s0, -1, v10
	s_or_b32 s7, vcc_lo, s7
	s_delay_alu instid0(VALU_DEP_1)
	s_and_b32 s0, s0, exec_lo
	s_and_b32 s7, s7, exec_lo
	s_or_b32 s12, s12, s0
	s_or_b32 s9, s9, s7
	s_branch .LBB4_28
.LBB4_35:
	s_or_b32 exec_lo, exec_lo, s2
.LBB4_36:
	s_delay_alu instid0(SALU_CYCLE_1)
	s_or_b32 exec_lo, exec_lo, s1
.LBB4_37:
	v_mbcnt_lo_u32_b32 v2, -1, 0
	s_delay_alu instid0(VALU_DEP_1) | instskip(SKIP_1) | instid1(VALU_DEP_2)
	v_xor_b32_e32 v3, 4, v2
	v_xor_b32_e32 v4, 2, v2
	v_cmp_gt_i32_e32 vcc_lo, 32, v3
	v_cndmask_b32_e32 v3, v2, v3, vcc_lo
	s_delay_alu instid0(VALU_DEP_3) | instskip(SKIP_1) | instid1(VALU_DEP_1)
	v_cmp_gt_i32_e32 vcc_lo, 32, v4
	v_cndmask_b32_e32 v4, v2, v4, vcc_lo
	v_lshlrev_b32_e32 v4, 2, v4
	s_delay_alu instid0(VALU_DEP_4)
	v_lshlrev_b32_e32 v3, 2, v3
	ds_bpermute_b32 v3, v3, v6
	s_waitcnt lgkmcnt(0)
	v_add_nc_u32_e32 v3, v3, v6
	v_xor_b32_e32 v6, 1, v2
	ds_bpermute_b32 v4, v4, v3
	v_cmp_gt_i32_e32 vcc_lo, 32, v6
	v_cndmask_b32_e32 v6, v2, v6, vcc_lo
	v_cmp_eq_u32_e32 vcc_lo, 7, v5
	s_waitcnt lgkmcnt(0)
	v_add_nc_u32_e32 v2, v4, v3
	s_delay_alu instid0(VALU_DEP_3)
	v_lshlrev_b32_e32 v3, 2, v6
	ds_bpermute_b32 v3, v3, v2
	s_and_b32 exec_lo, exec_lo, vcc_lo
	s_cbranch_execz .LBB4_39
; %bb.38:
	v_lshlrev_b64 v[0:1], 2, v[0:1]
	s_waitcnt lgkmcnt(0)
	v_add_nc_u32_e32 v2, v3, v2
	s_delay_alu instid0(VALU_DEP_2) | instskip(NEXT) | instid1(VALU_DEP_3)
	v_add_co_u32 v0, vcc_lo, s24, v0
	v_add_co_ci_u32_e32 v1, vcc_lo, s25, v1, vcc_lo
	global_store_b32 v[0:1], v2, off
.LBB4_39:
	s_nop 0
	s_sendmsg sendmsg(MSG_DEALLOC_VGPRS)
	s_endpgm
	.section	.rodata,"a",@progbits
	.p2align	6, 0x0
	.amdhsa_kernel _ZN9rocsparseL22csrgemm_nnz_wf_per_rowILj256ELj8ELj64ELj79EiiEEvT4_PKS1_S3_PKT3_S3_S6_S3_S6_S3_PS4_21rocsparse_index_base_S8_S8_bb
		.amdhsa_group_segment_fixed_size 8192
		.amdhsa_private_segment_fixed_size 0
		.amdhsa_kernarg_size 96
		.amdhsa_user_sgpr_count 15
		.amdhsa_user_sgpr_dispatch_ptr 0
		.amdhsa_user_sgpr_queue_ptr 0
		.amdhsa_user_sgpr_kernarg_segment_ptr 1
		.amdhsa_user_sgpr_dispatch_id 0
		.amdhsa_user_sgpr_private_segment_size 0
		.amdhsa_wavefront_size32 1
		.amdhsa_uses_dynamic_stack 0
		.amdhsa_enable_private_segment 0
		.amdhsa_system_sgpr_workgroup_id_x 1
		.amdhsa_system_sgpr_workgroup_id_y 0
		.amdhsa_system_sgpr_workgroup_id_z 0
		.amdhsa_system_sgpr_workgroup_info 0
		.amdhsa_system_vgpr_workitem_id 0
		.amdhsa_next_free_vgpr 14
		.amdhsa_next_free_sgpr 31
		.amdhsa_reserve_vcc 1
		.amdhsa_float_round_mode_32 0
		.amdhsa_float_round_mode_16_64 0
		.amdhsa_float_denorm_mode_32 3
		.amdhsa_float_denorm_mode_16_64 3
		.amdhsa_dx10_clamp 1
		.amdhsa_ieee_mode 1
		.amdhsa_fp16_overflow 0
		.amdhsa_workgroup_processor_mode 1
		.amdhsa_memory_ordered 1
		.amdhsa_forward_progress 0
		.amdhsa_shared_vgpr_count 0
		.amdhsa_exception_fp_ieee_invalid_op 0
		.amdhsa_exception_fp_denorm_src 0
		.amdhsa_exception_fp_ieee_div_zero 0
		.amdhsa_exception_fp_ieee_overflow 0
		.amdhsa_exception_fp_ieee_underflow 0
		.amdhsa_exception_fp_ieee_inexact 0
		.amdhsa_exception_int_div_zero 0
	.end_amdhsa_kernel
	.section	.text._ZN9rocsparseL22csrgemm_nnz_wf_per_rowILj256ELj8ELj64ELj79EiiEEvT4_PKS1_S3_PKT3_S3_S6_S3_S6_S3_PS4_21rocsparse_index_base_S8_S8_bb,"axG",@progbits,_ZN9rocsparseL22csrgemm_nnz_wf_per_rowILj256ELj8ELj64ELj79EiiEEvT4_PKS1_S3_PKT3_S3_S6_S3_S6_S3_PS4_21rocsparse_index_base_S8_S8_bb,comdat
.Lfunc_end4:
	.size	_ZN9rocsparseL22csrgemm_nnz_wf_per_rowILj256ELj8ELj64ELj79EiiEEvT4_PKS1_S3_PKT3_S3_S6_S3_S6_S3_PS4_21rocsparse_index_base_S8_S8_bb, .Lfunc_end4-_ZN9rocsparseL22csrgemm_nnz_wf_per_rowILj256ELj8ELj64ELj79EiiEEvT4_PKS1_S3_PKT3_S3_S6_S3_S6_S3_PS4_21rocsparse_index_base_S8_S8_bb
                                        ; -- End function
	.section	.AMDGPU.csdata,"",@progbits
; Kernel info:
; codeLenInByte = 1504
; NumSgprs: 33
; NumVgprs: 14
; ScratchSize: 0
; MemoryBound: 0
; FloatMode: 240
; IeeeMode: 1
; LDSByteSize: 8192 bytes/workgroup (compile time only)
; SGPRBlocks: 4
; VGPRBlocks: 1
; NumSGPRsForWavesPerEU: 33
; NumVGPRsForWavesPerEU: 14
; Occupancy: 16
; WaveLimiterHint : 1
; COMPUTE_PGM_RSRC2:SCRATCH_EN: 0
; COMPUTE_PGM_RSRC2:USER_SGPR: 15
; COMPUTE_PGM_RSRC2:TRAP_HANDLER: 0
; COMPUTE_PGM_RSRC2:TGID_X_EN: 1
; COMPUTE_PGM_RSRC2:TGID_Y_EN: 0
; COMPUTE_PGM_RSRC2:TGID_Z_EN: 0
; COMPUTE_PGM_RSRC2:TIDIG_COMP_CNT: 0
	.section	.text._ZN9rocsparseL25csrgemm_nnz_block_per_rowILj128ELj8ELj512ELj79EiiEEvPKT4_S3_PKT3_S3_S6_S3_S6_S3_PS4_21rocsparse_index_base_S8_S8_bb,"axG",@progbits,_ZN9rocsparseL25csrgemm_nnz_block_per_rowILj128ELj8ELj512ELj79EiiEEvPKT4_S3_PKT3_S3_S6_S3_S6_S3_PS4_21rocsparse_index_base_S8_S8_bb,comdat
	.globl	_ZN9rocsparseL25csrgemm_nnz_block_per_rowILj128ELj8ELj512ELj79EiiEEvPKT4_S3_PKT3_S3_S6_S3_S6_S3_PS4_21rocsparse_index_base_S8_S8_bb ; -- Begin function _ZN9rocsparseL25csrgemm_nnz_block_per_rowILj128ELj8ELj512ELj79EiiEEvPKT4_S3_PKT3_S3_S6_S3_S6_S3_PS4_21rocsparse_index_base_S8_S8_bb
	.p2align	8
	.type	_ZN9rocsparseL25csrgemm_nnz_block_per_rowILj128ELj8ELj512ELj79EiiEEvPKT4_S3_PKT3_S3_S6_S3_S6_S3_PS4_21rocsparse_index_base_S8_S8_bb,@function
_ZN9rocsparseL25csrgemm_nnz_block_per_rowILj128ELj8ELj512ELj79EiiEEvPKT4_S3_PKT3_S3_S6_S3_S6_S3_PS4_21rocsparse_index_base_S8_S8_bb: ; @_ZN9rocsparseL25csrgemm_nnz_block_per_rowILj128ELj8ELj512ELj79EiiEEvPKT4_S3_PKT3_S3_S6_S3_S6_S3_PS4_21rocsparse_index_base_S8_S8_bb
; %bb.0:
	s_load_b256 s[16:23], s[0:1], 0x0
	s_mov_b32 s3, 0
	v_lshl_add_u32 v4, v0, 2, 0
	s_waitcnt lgkmcnt(0)
	s_load_b32 s2, s[16:17], 0x0
	s_load_b64 s[16:17], s[0:1], 0x40
	s_waitcnt lgkmcnt(0)
	s_add_i32 s2, s2, s15
	s_delay_alu instid0(SALU_CYCLE_1)
	s_lshl_b64 s[4:5], s[2:3], 2
	s_mov_b32 s2, exec_lo
	s_add_u32 s12, s18, s4
	s_addc_u32 s13, s19, s5
	s_load_b256 s[4:11], s[0:1], 0x20
	s_load_b32 s18, s[12:13], 0x0
	v_cmpx_gt_u32_e32 0x200, v0
	s_cbranch_execz .LBB5_3
; %bb.1:
	v_or_b32_e32 v1, 0xffffff80, v0
	v_dual_mov_b32 v2, -1 :: v_dual_mov_b32 v3, v4
.LBB5_2:                                ; =>This Inner Loop Header: Depth=1
	s_delay_alu instid0(VALU_DEP_2) | instskip(SKIP_4) | instid1(SALU_CYCLE_1)
	v_add_nc_u32_e32 v1, 0x80, v1
	ds_store_b32 v3, v2
	v_add_nc_u32_e32 v3, 0x200, v3
	v_cmp_lt_u32_e32 vcc_lo, 0x17f, v1
	s_or_b32 s3, vcc_lo, s3
	s_and_not1_b32 exec_lo, exec_lo, s3
	s_cbranch_execnz .LBB5_2
.LBB5_3:
	s_or_b32 exec_lo, exec_lo, s2
	s_load_b128 s[12:15], s[0:1], 0x48
	v_dual_mov_b32 v7, 0 :: v_dual_and_b32 v6, 7, v0
	v_lshrrev_b32_e32 v5, 3, v0
	s_waitcnt lgkmcnt(0)
	s_barrier
	buffer_gl0_inv
	s_bitcmp1_b32 s15, 0
	s_cselect_b32 s2, -1, 0
	s_delay_alu instid0(SALU_CYCLE_1)
	s_and_b32 vcc_lo, exec_lo, s2
	s_cbranch_vccz .LBB5_21
; %bb.4:
	s_ashr_i32 s19, s18, 31
	v_subrev_nc_u32_e32 v1, s12, v5
	s_lshl_b64 s[2:3], s[18:19], 2
	v_mov_b32_e32 v7, 0
	s_add_u32 s2, s20, s2
	s_addc_u32 s3, s21, s3
	s_load_b64 s[2:3], s[2:3], 0x0
	s_waitcnt lgkmcnt(0)
	v_add_nc_u32_e32 v1, s2, v1
	s_sub_i32 s15, s3, s12
	s_mov_b32 s3, exec_lo
	s_delay_alu instid0(VALU_DEP_1)
	v_cmpx_gt_i32_e64 s15, v1
	s_cbranch_execz .LBB5_20
; %bb.5:
	v_subrev_nc_u32_e32 v8, s13, v6
	v_mov_b32_e32 v7, 0
	v_mov_b32_e32 v9, -1
	s_mov_b32 s19, 0
	s_branch .LBB5_8
.LBB5_6:                                ;   in Loop: Header=BB5_8 Depth=1
	s_or_b32 exec_lo, exec_lo, s21
.LBB5_7:                                ;   in Loop: Header=BB5_8 Depth=1
	s_delay_alu instid0(SALU_CYCLE_1) | instskip(SKIP_1) | instid1(VALU_DEP_1)
	s_or_b32 exec_lo, exec_lo, s20
	v_add_nc_u32_e32 v1, 16, v1
	v_cmp_le_i32_e32 vcc_lo, s15, v1
	s_or_b32 s19, vcc_lo, s19
	s_delay_alu instid0(SALU_CYCLE_1)
	s_and_not1_b32 exec_lo, exec_lo, s19
	s_cbranch_execz .LBB5_19
.LBB5_8:                                ; =>This Loop Header: Depth=1
                                        ;     Child Loop BB5_11 Depth 2
                                        ;       Child Loop BB5_14 Depth 3
	v_ashrrev_i32_e32 v2, 31, v1
	s_mov_b32 s20, exec_lo
	s_delay_alu instid0(VALU_DEP_1) | instskip(NEXT) | instid1(VALU_DEP_1)
	v_lshlrev_b64 v[2:3], 2, v[1:2]
	v_add_co_u32 v2, vcc_lo, s22, v2
	s_delay_alu instid0(VALU_DEP_2) | instskip(SKIP_3) | instid1(VALU_DEP_1)
	v_add_co_ci_u32_e32 v3, vcc_lo, s23, v3, vcc_lo
	global_load_b32 v2, v[2:3], off
	s_waitcnt vmcnt(0)
	v_subrev_nc_u32_e32 v2, s12, v2
	v_ashrrev_i32_e32 v3, 31, v2
	s_delay_alu instid0(VALU_DEP_1) | instskip(NEXT) | instid1(VALU_DEP_1)
	v_lshlrev_b64 v[2:3], 2, v[2:3]
	v_add_co_u32 v2, vcc_lo, s4, v2
	s_delay_alu instid0(VALU_DEP_2) | instskip(SKIP_4) | instid1(VALU_DEP_1)
	v_add_co_ci_u32_e32 v3, vcc_lo, s5, v3, vcc_lo
	global_load_b64 v[2:3], v[2:3], off
	s_waitcnt vmcnt(0)
	v_subrev_nc_u32_e32 v10, s13, v3
	v_add_nc_u32_e32 v2, v8, v2
	v_cmpx_lt_i32_e64 v2, v10
	s_cbranch_execz .LBB5_7
; %bb.9:                                ;   in Loop: Header=BB5_8 Depth=1
	s_mov_b32 s21, 0
	s_branch .LBB5_11
.LBB5_10:                               ;   in Loop: Header=BB5_11 Depth=2
	s_or_b32 exec_lo, exec_lo, s25
	v_add_nc_u32_e32 v2, 8, v2
	v_cndmask_b32_e64 v3, 0, 1, s24
	s_delay_alu instid0(VALU_DEP_2) | instskip(NEXT) | instid1(VALU_DEP_2)
	v_cmp_ge_i32_e32 vcc_lo, v2, v10
	v_add_nc_u32_e32 v7, v7, v3
	s_or_b32 s21, vcc_lo, s21
	s_delay_alu instid0(SALU_CYCLE_1)
	s_and_not1_b32 exec_lo, exec_lo, s21
	s_cbranch_execz .LBB5_6
.LBB5_11:                               ;   Parent Loop BB5_8 Depth=1
                                        ; =>  This Loop Header: Depth=2
                                        ;       Child Loop BB5_14 Depth 3
	v_ashrrev_i32_e32 v3, 31, v2
	s_mov_b32 s25, 0
                                        ; implicit-def: $sgpr24
                                        ; implicit-def: $sgpr26
                                        ; implicit-def: $sgpr27
                                        ; implicit-def: $sgpr28
	s_delay_alu instid0(VALU_DEP_1) | instskip(NEXT) | instid1(VALU_DEP_1)
	v_lshlrev_b64 v[11:12], 2, v[2:3]
	v_add_co_u32 v11, vcc_lo, s6, v11
	s_delay_alu instid0(VALU_DEP_2) | instskip(SKIP_3) | instid1(VALU_DEP_1)
	v_add_co_ci_u32_e32 v12, vcc_lo, s7, v12, vcc_lo
	global_load_b32 v3, v[11:12], off
	s_waitcnt vmcnt(0)
	v_subrev_nc_u32_e32 v3, s13, v3
	v_mul_lo_u32 v11, 0x4f, v3
	s_delay_alu instid0(VALU_DEP_1)
	v_and_b32_e32 v11, 0x1ff, v11
	s_branch .LBB5_14
.LBB5_12:                               ;   in Loop: Header=BB5_14 Depth=3
	s_or_b32 exec_lo, exec_lo, s33
	s_delay_alu instid0(SALU_CYCLE_1)
	s_and_not1_b32 s2, s27, exec_lo
	s_and_b32 s27, s30, exec_lo
	s_and_not1_b32 s26, s26, exec_lo
	s_and_b32 s28, s31, exec_lo
	s_or_b32 s27, s2, s27
	s_or_b32 s26, s26, s28
                                        ; implicit-def: $sgpr28
.LBB5_13:                               ;   in Loop: Header=BB5_14 Depth=3
	s_or_b32 exec_lo, exec_lo, s29
	s_xor_b32 s2, s26, -1
	s_delay_alu instid0(SALU_CYCLE_1) | instskip(NEXT) | instid1(SALU_CYCLE_1)
	s_and_b32 s2, exec_lo, s2
	s_or_b32 s25, s2, s25
	s_and_not1_b32 s2, s28, exec_lo
	s_and_b32 s29, s27, exec_lo
	s_and_not1_b32 s24, s24, exec_lo
	s_or_b32 s28, s2, s29
	s_or_b32 s24, s24, s29
	s_and_not1_b32 exec_lo, exec_lo, s25
	s_cbranch_execz .LBB5_10
.LBB5_14:                               ;   Parent Loop BB5_8 Depth=1
                                        ;     Parent Loop BB5_11 Depth=2
                                        ; =>    This Inner Loop Header: Depth=3
	s_delay_alu instid0(VALU_DEP_1)
	v_lshl_add_u32 v12, v11, 2, 0
	s_and_not1_b32 s27, s27, exec_lo
	s_and_not1_b32 s26, s26, exec_lo
	s_mov_b32 s29, exec_lo
	ds_load_b32 v13, v12
	s_waitcnt lgkmcnt(0)
	v_cmpx_ne_u32_e64 v13, v3
	s_cbranch_execz .LBB5_13
; %bb.15:                               ;   in Loop: Header=BB5_14 Depth=3
	s_mov_b32 s2, exec_lo
                                        ; implicit-def: $sgpr30
                                        ; implicit-def: $sgpr31
	v_cmpx_ne_u32_e32 -1, v13
	s_xor_b32 s2, exec_lo, s2
; %bb.16:                               ;   in Loop: Header=BB5_14 Depth=3
	v_add_nc_u32_e32 v11, 1, v11
	s_mov_b32 s31, -1
	s_and_b32 s30, s28, exec_lo
                                        ; implicit-def: $vgpr12
	s_delay_alu instid0(VALU_DEP_1)
	v_and_b32_e32 v11, 0x1ff, v11
; %bb.17:                               ;   in Loop: Header=BB5_14 Depth=3
	s_and_not1_saveexec_b32 s33, s2
	s_cbranch_execz .LBB5_12
; %bb.18:                               ;   in Loop: Header=BB5_14 Depth=3
	ds_cmpstore_rtn_b32 v12, v12, v3, v9
	s_and_not1_b32 s31, s31, exec_lo
	s_and_not1_b32 s30, s30, exec_lo
	s_waitcnt lgkmcnt(0)
	v_cmp_eq_u32_e32 vcc_lo, -1, v12
	v_cmp_ne_u32_e64 s2, -1, v12
	s_or_b32 s28, vcc_lo, s28
	s_delay_alu instid0(VALU_DEP_1)
	s_and_b32 s2, s2, exec_lo
	s_and_b32 s28, s28, exec_lo
	s_or_b32 s31, s31, s2
	s_or_b32 s30, s30, s28
	s_branch .LBB5_12
.LBB5_19:
	s_or_b32 exec_lo, exec_lo, s19
.LBB5_20:
	s_delay_alu instid0(SALU_CYCLE_1)
	s_or_b32 exec_lo, exec_lo, s3
.LBB5_21:
	s_load_b32 s0, s[0:1], 0x54
	s_waitcnt lgkmcnt(0)
	s_bfe_u32 s0, s0, 0x10008
	s_delay_alu instid0(SALU_CYCLE_1)
	s_cmp_eq_u32 s0, 0
	s_cbranch_scc1 .LBB5_35
; %bb.22:
	s_ashr_i32 s19, s18, 31
	v_subrev_nc_u32_e32 v1, s14, v5
	s_lshl_b64 s[0:1], s[18:19], 2
	s_delay_alu instid0(SALU_CYCLE_1)
	s_add_u32 s0, s8, s0
	s_addc_u32 s1, s9, s1
	s_load_b64 s[0:1], s[0:1], 0x0
	s_waitcnt lgkmcnt(0)
	v_add_nc_u32_e32 v1, s0, v1
	s_sub_i32 s2, s1, s14
	s_mov_b32 s1, exec_lo
	s_delay_alu instid0(VALU_DEP_1)
	v_cmpx_gt_i32_e64 s2, v1
	s_cbranch_execz .LBB5_34
; %bb.23:
	v_mov_b32_e32 v3, -1
	s_mov_b32 s3, 0
	s_branch .LBB5_25
.LBB5_24:                               ;   in Loop: Header=BB5_25 Depth=1
	s_or_b32 exec_lo, exec_lo, s5
	v_add_nc_u32_e32 v1, 16, v1
	v_cndmask_b32_e64 v2, 0, 1, s4
	s_delay_alu instid0(VALU_DEP_2) | instskip(NEXT) | instid1(VALU_DEP_2)
	v_cmp_le_i32_e32 vcc_lo, s2, v1
	v_add_nc_u32_e32 v7, v7, v2
	s_or_b32 s3, vcc_lo, s3
	s_delay_alu instid0(SALU_CYCLE_1)
	s_and_not1_b32 exec_lo, exec_lo, s3
	s_cbranch_execz .LBB5_33
.LBB5_25:                               ; =>This Loop Header: Depth=1
                                        ;     Child Loop BB5_28 Depth 2
	v_ashrrev_i32_e32 v2, 31, v1
	s_mov_b32 s5, 0
                                        ; implicit-def: $sgpr4
                                        ; implicit-def: $sgpr6
                                        ; implicit-def: $sgpr7
                                        ; implicit-def: $sgpr8
	s_delay_alu instid0(VALU_DEP_1) | instskip(NEXT) | instid1(VALU_DEP_1)
	v_lshlrev_b64 v[8:9], 2, v[1:2]
	v_add_co_u32 v8, vcc_lo, s10, v8
	s_delay_alu instid0(VALU_DEP_2) | instskip(SKIP_3) | instid1(VALU_DEP_1)
	v_add_co_ci_u32_e32 v9, vcc_lo, s11, v9, vcc_lo
	global_load_b32 v2, v[8:9], off
	s_waitcnt vmcnt(0)
	v_subrev_nc_u32_e32 v2, s14, v2
	v_mul_lo_u32 v8, 0x4f, v2
	s_delay_alu instid0(VALU_DEP_1)
	v_and_b32_e32 v8, 0x1ff, v8
	s_branch .LBB5_28
.LBB5_26:                               ;   in Loop: Header=BB5_28 Depth=2
	s_or_b32 exec_lo, exec_lo, s15
	s_delay_alu instid0(SALU_CYCLE_1)
	s_and_not1_b32 s0, s7, exec_lo
	s_and_b32 s7, s12, exec_lo
	s_and_not1_b32 s6, s6, exec_lo
	s_and_b32 s8, s13, exec_lo
	s_or_b32 s7, s0, s7
	s_or_b32 s6, s6, s8
                                        ; implicit-def: $sgpr8
.LBB5_27:                               ;   in Loop: Header=BB5_28 Depth=2
	s_or_b32 exec_lo, exec_lo, s9
	s_xor_b32 s0, s6, -1
	s_delay_alu instid0(SALU_CYCLE_1) | instskip(NEXT) | instid1(SALU_CYCLE_1)
	s_and_b32 s0, exec_lo, s0
	s_or_b32 s5, s0, s5
	s_and_not1_b32 s0, s8, exec_lo
	s_and_b32 s9, s7, exec_lo
	s_and_not1_b32 s4, s4, exec_lo
	s_or_b32 s8, s0, s9
	s_or_b32 s4, s4, s9
	s_and_not1_b32 exec_lo, exec_lo, s5
	s_cbranch_execz .LBB5_24
.LBB5_28:                               ;   Parent Loop BB5_25 Depth=1
                                        ; =>  This Inner Loop Header: Depth=2
	s_delay_alu instid0(VALU_DEP_1)
	v_lshl_add_u32 v9, v8, 2, 0
	s_and_not1_b32 s7, s7, exec_lo
	s_and_not1_b32 s6, s6, exec_lo
	s_mov_b32 s9, exec_lo
	ds_load_b32 v10, v9
	s_waitcnt lgkmcnt(0)
	v_cmpx_ne_u32_e64 v10, v2
	s_cbranch_execz .LBB5_27
; %bb.29:                               ;   in Loop: Header=BB5_28 Depth=2
	s_mov_b32 s0, exec_lo
                                        ; implicit-def: $sgpr12
                                        ; implicit-def: $sgpr13
	v_cmpx_ne_u32_e32 -1, v10
	s_xor_b32 s0, exec_lo, s0
; %bb.30:                               ;   in Loop: Header=BB5_28 Depth=2
	v_add_nc_u32_e32 v8, 1, v8
	s_mov_b32 s13, -1
	s_and_b32 s12, s8, exec_lo
                                        ; implicit-def: $vgpr9
	s_delay_alu instid0(VALU_DEP_1)
	v_and_b32_e32 v8, 0x1ff, v8
; %bb.31:                               ;   in Loop: Header=BB5_28 Depth=2
	s_and_not1_saveexec_b32 s15, s0
	s_cbranch_execz .LBB5_26
; %bb.32:                               ;   in Loop: Header=BB5_28 Depth=2
	ds_cmpstore_rtn_b32 v9, v9, v2, v3
	s_and_not1_b32 s13, s13, exec_lo
	s_and_not1_b32 s12, s12, exec_lo
	s_waitcnt lgkmcnt(0)
	v_cmp_eq_u32_e32 vcc_lo, -1, v9
	v_cmp_ne_u32_e64 s0, -1, v9
	s_or_b32 s8, vcc_lo, s8
	s_delay_alu instid0(VALU_DEP_1)
	s_and_b32 s0, s0, exec_lo
	s_and_b32 s8, s8, exec_lo
	s_or_b32 s13, s13, s0
	s_or_b32 s12, s12, s8
	s_branch .LBB5_26
.LBB5_33:
	s_or_b32 exec_lo, exec_lo, s3
.LBB5_34:
	s_delay_alu instid0(SALU_CYCLE_1)
	s_or_b32 exec_lo, exec_lo, s1
.LBB5_35:
	v_mbcnt_lo_u32_b32 v1, -1, 0
	s_mov_b32 s0, exec_lo
	s_barrier
	buffer_gl0_inv
	v_xor_b32_e32 v2, 4, v1
	v_xor_b32_e32 v3, 2, v1
	;; [unrolled: 1-line block ×3, first 2 shown]
	s_delay_alu instid0(VALU_DEP_3) | instskip(SKIP_1) | instid1(VALU_DEP_4)
	v_cmp_gt_i32_e32 vcc_lo, 32, v2
	v_cndmask_b32_e32 v2, v1, v2, vcc_lo
	v_cmp_gt_i32_e32 vcc_lo, 32, v3
	v_cndmask_b32_e32 v3, v1, v3, vcc_lo
	v_cmp_gt_i32_e32 vcc_lo, 32, v9
	s_delay_alu instid0(VALU_DEP_2)
	v_lshlrev_b32_e32 v3, 2, v3
	v_dual_cndmask_b32 v9, v1, v9 :: v_dual_lshlrev_b32 v2, 2, v2
	ds_bpermute_b32 v8, v2, v7
	s_waitcnt lgkmcnt(0)
	v_add_nc_u32_e32 v7, v8, v7
	ds_bpermute_b32 v8, v3, v7
	s_waitcnt lgkmcnt(0)
	v_add_nc_u32_e32 v8, v8, v7
	v_lshlrev_b32_e32 v7, 2, v9
	ds_bpermute_b32 v9, v7, v8
	v_cmpx_eq_u32_e32 7, v6
	s_cbranch_execz .LBB5_37
; %bb.36:
	v_lshl_add_u32 v5, v5, 2, 0
	s_waitcnt lgkmcnt(0)
	v_add_nc_u32_e32 v6, v9, v8
	ds_store_b32 v5, v6
.LBB5_37:
	s_or_b32 exec_lo, exec_lo, s0
	v_mov_b32_e32 v5, 0
	s_mov_b32 s0, exec_lo
	s_waitcnt lgkmcnt(0)
	s_barrier
	buffer_gl0_inv
	v_cmpx_gt_u32_e32 16, v0
	s_cbranch_execz .LBB5_39
; %bb.38:
	ds_load_b32 v5, v4
.LBB5_39:
	s_or_b32 exec_lo, exec_lo, s0
	v_xor_b32_e32 v4, 8, v1
	s_mov_b32 s0, exec_lo
	s_delay_alu instid0(VALU_DEP_1) | instskip(SKIP_1) | instid1(VALU_DEP_1)
	v_cmp_gt_i32_e32 vcc_lo, 32, v4
	v_cndmask_b32_e32 v1, v1, v4, vcc_lo
	v_lshlrev_b32_e32 v1, 2, v1
	s_waitcnt lgkmcnt(0)
	ds_bpermute_b32 v1, v1, v5
	s_waitcnt lgkmcnt(0)
	v_add_nc_u32_e32 v1, v1, v5
	ds_bpermute_b32 v2, v2, v1
	s_waitcnt lgkmcnt(0)
	v_add_nc_u32_e32 v1, v2, v1
	;; [unrolled: 3-line block ×3, first 2 shown]
	ds_bpermute_b32 v2, v7, v1
	v_cmpx_eq_u32_e32 15, v0
	s_cbranch_execz .LBB5_41
; %bb.40:
	s_ashr_i32 s19, s18, 31
	s_waitcnt lgkmcnt(0)
	v_dual_mov_b32 v0, 0 :: v_dual_add_nc_u32 v1, v2, v1
	s_lshl_b64 s[0:1], s[18:19], 2
	s_delay_alu instid0(SALU_CYCLE_1)
	s_add_u32 s0, s16, s0
	s_addc_u32 s1, s17, s1
	global_store_b32 v0, v1, s[0:1]
.LBB5_41:
	s_nop 0
	s_sendmsg sendmsg(MSG_DEALLOC_VGPRS)
	s_endpgm
	.section	.rodata,"a",@progbits
	.p2align	6, 0x0
	.amdhsa_kernel _ZN9rocsparseL25csrgemm_nnz_block_per_rowILj128ELj8ELj512ELj79EiiEEvPKT4_S3_PKT3_S3_S6_S3_S6_S3_PS4_21rocsparse_index_base_S8_S8_bb
		.amdhsa_group_segment_fixed_size 0
		.amdhsa_private_segment_fixed_size 0
		.amdhsa_kernarg_size 88
		.amdhsa_user_sgpr_count 15
		.amdhsa_user_sgpr_dispatch_ptr 0
		.amdhsa_user_sgpr_queue_ptr 0
		.amdhsa_user_sgpr_kernarg_segment_ptr 1
		.amdhsa_user_sgpr_dispatch_id 0
		.amdhsa_user_sgpr_private_segment_size 0
		.amdhsa_wavefront_size32 1
		.amdhsa_uses_dynamic_stack 0
		.amdhsa_enable_private_segment 0
		.amdhsa_system_sgpr_workgroup_id_x 1
		.amdhsa_system_sgpr_workgroup_id_y 0
		.amdhsa_system_sgpr_workgroup_id_z 0
		.amdhsa_system_sgpr_workgroup_info 0
		.amdhsa_system_vgpr_workitem_id 0
		.amdhsa_next_free_vgpr 14
		.amdhsa_next_free_sgpr 34
		.amdhsa_reserve_vcc 1
		.amdhsa_float_round_mode_32 0
		.amdhsa_float_round_mode_16_64 0
		.amdhsa_float_denorm_mode_32 3
		.amdhsa_float_denorm_mode_16_64 3
		.amdhsa_dx10_clamp 1
		.amdhsa_ieee_mode 1
		.amdhsa_fp16_overflow 0
		.amdhsa_workgroup_processor_mode 1
		.amdhsa_memory_ordered 1
		.amdhsa_forward_progress 0
		.amdhsa_shared_vgpr_count 0
		.amdhsa_exception_fp_ieee_invalid_op 0
		.amdhsa_exception_fp_denorm_src 0
		.amdhsa_exception_fp_ieee_div_zero 0
		.amdhsa_exception_fp_ieee_overflow 0
		.amdhsa_exception_fp_ieee_underflow 0
		.amdhsa_exception_fp_ieee_inexact 0
		.amdhsa_exception_int_div_zero 0
	.end_amdhsa_kernel
	.section	.text._ZN9rocsparseL25csrgemm_nnz_block_per_rowILj128ELj8ELj512ELj79EiiEEvPKT4_S3_PKT3_S3_S6_S3_S6_S3_PS4_21rocsparse_index_base_S8_S8_bb,"axG",@progbits,_ZN9rocsparseL25csrgemm_nnz_block_per_rowILj128ELj8ELj512ELj79EiiEEvPKT4_S3_PKT3_S3_S6_S3_S6_S3_PS4_21rocsparse_index_base_S8_S8_bb,comdat
.Lfunc_end5:
	.size	_ZN9rocsparseL25csrgemm_nnz_block_per_rowILj128ELj8ELj512ELj79EiiEEvPKT4_S3_PKT3_S3_S6_S3_S6_S3_PS4_21rocsparse_index_base_S8_S8_bb, .Lfunc_end5-_ZN9rocsparseL25csrgemm_nnz_block_per_rowILj128ELj8ELj512ELj79EiiEEvPKT4_S3_PKT3_S3_S6_S3_S6_S3_PS4_21rocsparse_index_base_S8_S8_bb
                                        ; -- End function
	.section	.AMDGPU.csdata,"",@progbits
; Kernel info:
; codeLenInByte = 1652
; NumSgprs: 36
; NumVgprs: 14
; ScratchSize: 0
; MemoryBound: 0
; FloatMode: 240
; IeeeMode: 1
; LDSByteSize: 0 bytes/workgroup (compile time only)
; SGPRBlocks: 4
; VGPRBlocks: 1
; NumSGPRsForWavesPerEU: 36
; NumVGPRsForWavesPerEU: 14
; Occupancy: 16
; WaveLimiterHint : 1
; COMPUTE_PGM_RSRC2:SCRATCH_EN: 0
; COMPUTE_PGM_RSRC2:USER_SGPR: 15
; COMPUTE_PGM_RSRC2:TRAP_HANDLER: 0
; COMPUTE_PGM_RSRC2:TGID_X_EN: 1
; COMPUTE_PGM_RSRC2:TGID_Y_EN: 0
; COMPUTE_PGM_RSRC2:TGID_Z_EN: 0
; COMPUTE_PGM_RSRC2:TIDIG_COMP_CNT: 0
	.section	.text._ZN9rocsparseL25csrgemm_nnz_block_per_rowILj128ELj8ELj1024ELj79EiiEEvPKT4_S3_PKT3_S3_S6_S3_S6_S3_PS4_21rocsparse_index_base_S8_S8_bb,"axG",@progbits,_ZN9rocsparseL25csrgemm_nnz_block_per_rowILj128ELj8ELj1024ELj79EiiEEvPKT4_S3_PKT3_S3_S6_S3_S6_S3_PS4_21rocsparse_index_base_S8_S8_bb,comdat
	.globl	_ZN9rocsparseL25csrgemm_nnz_block_per_rowILj128ELj8ELj1024ELj79EiiEEvPKT4_S3_PKT3_S3_S6_S3_S6_S3_PS4_21rocsparse_index_base_S8_S8_bb ; -- Begin function _ZN9rocsparseL25csrgemm_nnz_block_per_rowILj128ELj8ELj1024ELj79EiiEEvPKT4_S3_PKT3_S3_S6_S3_S6_S3_PS4_21rocsparse_index_base_S8_S8_bb
	.p2align	8
	.type	_ZN9rocsparseL25csrgemm_nnz_block_per_rowILj128ELj8ELj1024ELj79EiiEEvPKT4_S3_PKT3_S3_S6_S3_S6_S3_PS4_21rocsparse_index_base_S8_S8_bb,@function
_ZN9rocsparseL25csrgemm_nnz_block_per_rowILj128ELj8ELj1024ELj79EiiEEvPKT4_S3_PKT3_S3_S6_S3_S6_S3_PS4_21rocsparse_index_base_S8_S8_bb: ; @_ZN9rocsparseL25csrgemm_nnz_block_per_rowILj128ELj8ELj1024ELj79EiiEEvPKT4_S3_PKT3_S3_S6_S3_S6_S3_PS4_21rocsparse_index_base_S8_S8_bb
; %bb.0:
	s_load_b128 s[4:7], s[0:1], 0x0
	s_mov_b32 s3, 0
	v_lshl_add_u32 v4, v0, 2, 0
	v_mov_b32_e32 v1, -1
	ds_store_b32 v4, v1
	s_waitcnt lgkmcnt(0)
	s_load_b32 s2, s[4:5], 0x0
	s_waitcnt lgkmcnt(0)
	s_add_i32 s2, s2, s15
	s_delay_alu instid0(SALU_CYCLE_1) | instskip(NEXT) | instid1(SALU_CYCLE_1)
	s_lshl_b64 s[2:3], s[2:3], 2
	s_add_u32 s2, s6, s2
	s_addc_u32 s3, s7, s3
	s_load_b32 s12, s[2:3], 0x0
	s_mov_b32 s2, exec_lo
	v_cmpx_gt_u32_e32 0x380, v0
	s_cbranch_execz .LBB6_8
; %bb.1:
	ds_store_b32 v4, v1 offset:512
	s_mov_b32 s3, exec_lo
	v_cmpx_gt_u32_e32 0x300, v0
	s_xor_b32 s3, exec_lo, s3
	s_cbranch_execz .LBB6_8
; %bb.2:
	v_mov_b32_e32 v1, -1
	s_mov_b32 s3, exec_lo
	ds_store_b32 v4, v1 offset:1024
	v_cmpx_gt_u32_e32 0x280, v0
	s_xor_b32 s3, exec_lo, s3
	s_cbranch_execz .LBB6_8
; %bb.3:
	ds_store_b32 v4, v1 offset:1536
	s_mov_b32 s3, exec_lo
	v_cmpx_gt_u32_e32 0x200, v0
	s_xor_b32 s3, exec_lo, s3
	s_cbranch_execz .LBB6_8
; %bb.4:
	v_mov_b32_e32 v1, -1
	s_mov_b32 s3, exec_lo
	ds_store_b32 v4, v1 offset:2048
	v_cmpx_gt_u32_e32 0x180, v0
	s_xor_b32 s3, exec_lo, s3
	;; [unrolled: 13-line block ×3, first 2 shown]
	s_cbranch_execz .LBB6_8
; %bb.7:
	ds_store_b32 v4, v1 offset:3584
.LBB6_8:
	s_or_b32 exec_lo, exec_lo, s2
	s_load_b128 s[4:7], s[0:1], 0x48
	v_dual_mov_b32 v7, 0 :: v_dual_and_b32 v6, 7, v0
	v_lshrrev_b32_e32 v5, 3, v0
	s_waitcnt lgkmcnt(0)
	s_barrier
	buffer_gl0_inv
	s_bitcmp1_b32 s7, 0
	s_cselect_b32 s2, -1, 0
	s_delay_alu instid0(SALU_CYCLE_1)
	s_and_b32 vcc_lo, exec_lo, s2
	s_cbranch_vccz .LBB6_26
; %bb.9:
	s_load_b64 s[2:3], s[0:1], 0x10
	s_ashr_i32 s13, s12, 31
	v_subrev_nc_u32_e32 v1, s4, v5
	s_lshl_b64 s[8:9], s[12:13], 2
	v_mov_b32_e32 v7, 0
	s_waitcnt lgkmcnt(0)
	s_add_u32 s2, s2, s8
	s_addc_u32 s3, s3, s9
	s_load_b64 s[2:3], s[2:3], 0x0
	s_waitcnt lgkmcnt(0)
	v_add_nc_u32_e32 v1, s2, v1
	s_sub_i32 s7, s3, s4
	s_mov_b32 s3, exec_lo
	s_delay_alu instid0(VALU_DEP_1)
	v_cmpx_gt_i32_e64 s7, v1
	s_cbranch_execz .LBB6_25
; %bb.10:
	s_clause 0x1
	s_load_b128 s[8:11], s[0:1], 0x18
	s_load_b64 s[14:15], s[0:1], 0x28
	v_subrev_nc_u32_e32 v8, s5, v6
	v_mov_b32_e32 v7, 0
	v_mov_b32_e32 v9, -1
	s_mov_b32 s13, 0
	s_branch .LBB6_13
.LBB6_11:                               ;   in Loop: Header=BB6_13 Depth=1
	s_or_b32 exec_lo, exec_lo, s17
.LBB6_12:                               ;   in Loop: Header=BB6_13 Depth=1
	s_delay_alu instid0(SALU_CYCLE_1) | instskip(SKIP_1) | instid1(VALU_DEP_1)
	s_or_b32 exec_lo, exec_lo, s16
	v_add_nc_u32_e32 v1, 16, v1
	v_cmp_le_i32_e32 vcc_lo, s7, v1
	s_or_b32 s13, vcc_lo, s13
	s_delay_alu instid0(SALU_CYCLE_1)
	s_and_not1_b32 exec_lo, exec_lo, s13
	s_cbranch_execz .LBB6_24
.LBB6_13:                               ; =>This Loop Header: Depth=1
                                        ;     Child Loop BB6_16 Depth 2
                                        ;       Child Loop BB6_19 Depth 3
	v_ashrrev_i32_e32 v2, 31, v1
	s_mov_b32 s16, exec_lo
	s_delay_alu instid0(VALU_DEP_1) | instskip(SKIP_1) | instid1(VALU_DEP_1)
	v_lshlrev_b64 v[2:3], 2, v[1:2]
	s_waitcnt lgkmcnt(0)
	v_add_co_u32 v2, vcc_lo, s8, v2
	s_delay_alu instid0(VALU_DEP_2) | instskip(SKIP_3) | instid1(VALU_DEP_1)
	v_add_co_ci_u32_e32 v3, vcc_lo, s9, v3, vcc_lo
	global_load_b32 v2, v[2:3], off
	s_waitcnt vmcnt(0)
	v_subrev_nc_u32_e32 v2, s4, v2
	v_ashrrev_i32_e32 v3, 31, v2
	s_delay_alu instid0(VALU_DEP_1) | instskip(NEXT) | instid1(VALU_DEP_1)
	v_lshlrev_b64 v[2:3], 2, v[2:3]
	v_add_co_u32 v2, vcc_lo, s10, v2
	s_delay_alu instid0(VALU_DEP_2) | instskip(SKIP_4) | instid1(VALU_DEP_1)
	v_add_co_ci_u32_e32 v3, vcc_lo, s11, v3, vcc_lo
	global_load_b64 v[2:3], v[2:3], off
	s_waitcnt vmcnt(0)
	v_subrev_nc_u32_e32 v10, s5, v3
	v_add_nc_u32_e32 v2, v8, v2
	v_cmpx_lt_i32_e64 v2, v10
	s_cbranch_execz .LBB6_12
; %bb.14:                               ;   in Loop: Header=BB6_13 Depth=1
	s_mov_b32 s17, 0
	s_branch .LBB6_16
.LBB6_15:                               ;   in Loop: Header=BB6_16 Depth=2
	s_or_b32 exec_lo, exec_lo, s19
	v_add_nc_u32_e32 v2, 8, v2
	v_cndmask_b32_e64 v3, 0, 1, s18
	s_delay_alu instid0(VALU_DEP_2) | instskip(NEXT) | instid1(VALU_DEP_2)
	v_cmp_ge_i32_e32 vcc_lo, v2, v10
	v_add_nc_u32_e32 v7, v7, v3
	s_or_b32 s17, vcc_lo, s17
	s_delay_alu instid0(SALU_CYCLE_1)
	s_and_not1_b32 exec_lo, exec_lo, s17
	s_cbranch_execz .LBB6_11
.LBB6_16:                               ;   Parent Loop BB6_13 Depth=1
                                        ; =>  This Loop Header: Depth=2
                                        ;       Child Loop BB6_19 Depth 3
	v_ashrrev_i32_e32 v3, 31, v2
	s_mov_b32 s19, 0
                                        ; implicit-def: $sgpr18
                                        ; implicit-def: $sgpr20
                                        ; implicit-def: $sgpr21
                                        ; implicit-def: $sgpr22
	s_delay_alu instid0(VALU_DEP_1) | instskip(NEXT) | instid1(VALU_DEP_1)
	v_lshlrev_b64 v[11:12], 2, v[2:3]
	v_add_co_u32 v11, vcc_lo, s14, v11
	s_delay_alu instid0(VALU_DEP_2) | instskip(SKIP_3) | instid1(VALU_DEP_1)
	v_add_co_ci_u32_e32 v12, vcc_lo, s15, v12, vcc_lo
	global_load_b32 v3, v[11:12], off
	s_waitcnt vmcnt(0)
	v_subrev_nc_u32_e32 v3, s5, v3
	v_mul_lo_u32 v11, 0x4f, v3
	s_delay_alu instid0(VALU_DEP_1)
	v_and_b32_e32 v11, 0x3ff, v11
	s_branch .LBB6_19
.LBB6_17:                               ;   in Loop: Header=BB6_19 Depth=3
	s_or_b32 exec_lo, exec_lo, s26
	s_delay_alu instid0(SALU_CYCLE_1)
	s_and_not1_b32 s2, s21, exec_lo
	s_and_b32 s21, s24, exec_lo
	s_and_not1_b32 s20, s20, exec_lo
	s_and_b32 s22, s25, exec_lo
	s_or_b32 s21, s2, s21
	s_or_b32 s20, s20, s22
                                        ; implicit-def: $sgpr22
.LBB6_18:                               ;   in Loop: Header=BB6_19 Depth=3
	s_or_b32 exec_lo, exec_lo, s23
	s_xor_b32 s2, s20, -1
	s_delay_alu instid0(SALU_CYCLE_1) | instskip(NEXT) | instid1(SALU_CYCLE_1)
	s_and_b32 s2, exec_lo, s2
	s_or_b32 s19, s2, s19
	s_and_not1_b32 s2, s22, exec_lo
	s_and_b32 s23, s21, exec_lo
	s_and_not1_b32 s18, s18, exec_lo
	s_or_b32 s22, s2, s23
	s_or_b32 s18, s18, s23
	s_and_not1_b32 exec_lo, exec_lo, s19
	s_cbranch_execz .LBB6_15
.LBB6_19:                               ;   Parent Loop BB6_13 Depth=1
                                        ;     Parent Loop BB6_16 Depth=2
                                        ; =>    This Inner Loop Header: Depth=3
	s_delay_alu instid0(VALU_DEP_1)
	v_lshl_add_u32 v12, v11, 2, 0
	s_and_not1_b32 s21, s21, exec_lo
	s_and_not1_b32 s20, s20, exec_lo
	s_mov_b32 s23, exec_lo
	ds_load_b32 v13, v12
	s_waitcnt lgkmcnt(0)
	v_cmpx_ne_u32_e64 v13, v3
	s_cbranch_execz .LBB6_18
; %bb.20:                               ;   in Loop: Header=BB6_19 Depth=3
	s_mov_b32 s2, exec_lo
                                        ; implicit-def: $sgpr24
                                        ; implicit-def: $sgpr25
	v_cmpx_ne_u32_e32 -1, v13
	s_xor_b32 s2, exec_lo, s2
; %bb.21:                               ;   in Loop: Header=BB6_19 Depth=3
	v_add_nc_u32_e32 v11, 1, v11
	s_mov_b32 s25, -1
	s_and_b32 s24, s22, exec_lo
                                        ; implicit-def: $vgpr12
	s_delay_alu instid0(VALU_DEP_1)
	v_and_b32_e32 v11, 0x3ff, v11
; %bb.22:                               ;   in Loop: Header=BB6_19 Depth=3
	s_and_not1_saveexec_b32 s26, s2
	s_cbranch_execz .LBB6_17
; %bb.23:                               ;   in Loop: Header=BB6_19 Depth=3
	ds_cmpstore_rtn_b32 v12, v12, v3, v9
	s_and_not1_b32 s25, s25, exec_lo
	s_and_not1_b32 s24, s24, exec_lo
	s_waitcnt lgkmcnt(0)
	v_cmp_eq_u32_e32 vcc_lo, -1, v12
	v_cmp_ne_u32_e64 s2, -1, v12
	s_or_b32 s22, vcc_lo, s22
	s_delay_alu instid0(VALU_DEP_1)
	s_and_b32 s2, s2, exec_lo
	s_and_b32 s22, s22, exec_lo
	s_or_b32 s25, s25, s2
	s_or_b32 s24, s24, s22
	s_branch .LBB6_17
.LBB6_24:
	s_or_b32 exec_lo, exec_lo, s13
.LBB6_25:
	s_delay_alu instid0(SALU_CYCLE_1)
	s_or_b32 exec_lo, exec_lo, s3
.LBB6_26:
	s_load_b32 s2, s[0:1], 0x54
	s_waitcnt lgkmcnt(0)
	s_bfe_u32 s2, s2, 0x10008
	s_delay_alu instid0(SALU_CYCLE_1)
	s_cmp_eq_u32 s2, 0
	s_cbranch_scc1 .LBB6_40
; %bb.27:
	s_load_b64 s[2:3], s[0:1], 0x30
	s_ashr_i32 s13, s12, 31
	v_subrev_nc_u32_e32 v1, s6, v5
	s_lshl_b64 s[4:5], s[12:13], 2
	s_waitcnt lgkmcnt(0)
	s_add_u32 s2, s2, s4
	s_addc_u32 s3, s3, s5
	s_load_b64 s[2:3], s[2:3], 0x0
	s_waitcnt lgkmcnt(0)
	v_add_nc_u32_e32 v1, s2, v1
	s_sub_i32 s7, s3, s6
	s_mov_b32 s3, exec_lo
	s_delay_alu instid0(VALU_DEP_1)
	v_cmpx_gt_i32_e64 s7, v1
	s_cbranch_execz .LBB6_39
; %bb.28:
	s_load_b64 s[4:5], s[0:1], 0x38
	v_mov_b32_e32 v3, -1
	s_mov_b32 s8, 0
	s_branch .LBB6_30
.LBB6_29:                               ;   in Loop: Header=BB6_30 Depth=1
	s_or_b32 exec_lo, exec_lo, s10
	v_add_nc_u32_e32 v1, 16, v1
	v_cndmask_b32_e64 v2, 0, 1, s9
	s_delay_alu instid0(VALU_DEP_2) | instskip(NEXT) | instid1(VALU_DEP_2)
	v_cmp_le_i32_e32 vcc_lo, s7, v1
	v_add_nc_u32_e32 v7, v7, v2
	s_or_b32 s8, vcc_lo, s8
	s_delay_alu instid0(SALU_CYCLE_1)
	s_and_not1_b32 exec_lo, exec_lo, s8
	s_cbranch_execz .LBB6_38
.LBB6_30:                               ; =>This Loop Header: Depth=1
                                        ;     Child Loop BB6_33 Depth 2
	v_ashrrev_i32_e32 v2, 31, v1
	s_mov_b32 s10, 0
                                        ; implicit-def: $sgpr9
                                        ; implicit-def: $sgpr11
                                        ; implicit-def: $sgpr13
                                        ; implicit-def: $sgpr14
	s_delay_alu instid0(VALU_DEP_1) | instskip(SKIP_1) | instid1(VALU_DEP_1)
	v_lshlrev_b64 v[8:9], 2, v[1:2]
	s_waitcnt lgkmcnt(0)
	v_add_co_u32 v8, vcc_lo, s4, v8
	s_delay_alu instid0(VALU_DEP_2) | instskip(SKIP_3) | instid1(VALU_DEP_1)
	v_add_co_ci_u32_e32 v9, vcc_lo, s5, v9, vcc_lo
	global_load_b32 v2, v[8:9], off
	s_waitcnt vmcnt(0)
	v_subrev_nc_u32_e32 v2, s6, v2
	v_mul_lo_u32 v8, 0x4f, v2
	s_delay_alu instid0(VALU_DEP_1)
	v_and_b32_e32 v8, 0x3ff, v8
	s_branch .LBB6_33
.LBB6_31:                               ;   in Loop: Header=BB6_33 Depth=2
	s_or_b32 exec_lo, exec_lo, s18
	s_delay_alu instid0(SALU_CYCLE_1)
	s_and_not1_b32 s2, s13, exec_lo
	s_and_b32 s13, s16, exec_lo
	s_and_not1_b32 s11, s11, exec_lo
	s_and_b32 s14, s17, exec_lo
	s_or_b32 s13, s2, s13
	s_or_b32 s11, s11, s14
                                        ; implicit-def: $sgpr14
.LBB6_32:                               ;   in Loop: Header=BB6_33 Depth=2
	s_or_b32 exec_lo, exec_lo, s15
	s_xor_b32 s2, s11, -1
	s_delay_alu instid0(SALU_CYCLE_1) | instskip(NEXT) | instid1(SALU_CYCLE_1)
	s_and_b32 s2, exec_lo, s2
	s_or_b32 s10, s2, s10
	s_and_not1_b32 s2, s14, exec_lo
	s_and_b32 s15, s13, exec_lo
	s_and_not1_b32 s9, s9, exec_lo
	s_or_b32 s14, s2, s15
	s_or_b32 s9, s9, s15
	s_and_not1_b32 exec_lo, exec_lo, s10
	s_cbranch_execz .LBB6_29
.LBB6_33:                               ;   Parent Loop BB6_30 Depth=1
                                        ; =>  This Inner Loop Header: Depth=2
	s_delay_alu instid0(VALU_DEP_1)
	v_lshl_add_u32 v9, v8, 2, 0
	s_and_not1_b32 s13, s13, exec_lo
	s_and_not1_b32 s11, s11, exec_lo
	s_mov_b32 s15, exec_lo
	ds_load_b32 v10, v9
	s_waitcnt lgkmcnt(0)
	v_cmpx_ne_u32_e64 v10, v2
	s_cbranch_execz .LBB6_32
; %bb.34:                               ;   in Loop: Header=BB6_33 Depth=2
	s_mov_b32 s2, exec_lo
                                        ; implicit-def: $sgpr16
                                        ; implicit-def: $sgpr17
	v_cmpx_ne_u32_e32 -1, v10
	s_xor_b32 s2, exec_lo, s2
; %bb.35:                               ;   in Loop: Header=BB6_33 Depth=2
	v_add_nc_u32_e32 v8, 1, v8
	s_mov_b32 s17, -1
	s_and_b32 s16, s14, exec_lo
                                        ; implicit-def: $vgpr9
	s_delay_alu instid0(VALU_DEP_1)
	v_and_b32_e32 v8, 0x3ff, v8
; %bb.36:                               ;   in Loop: Header=BB6_33 Depth=2
	s_and_not1_saveexec_b32 s18, s2
	s_cbranch_execz .LBB6_31
; %bb.37:                               ;   in Loop: Header=BB6_33 Depth=2
	ds_cmpstore_rtn_b32 v9, v9, v2, v3
	s_and_not1_b32 s17, s17, exec_lo
	s_and_not1_b32 s16, s16, exec_lo
	s_waitcnt lgkmcnt(0)
	v_cmp_eq_u32_e32 vcc_lo, -1, v9
	v_cmp_ne_u32_e64 s2, -1, v9
	s_or_b32 s14, vcc_lo, s14
	s_delay_alu instid0(VALU_DEP_1)
	s_and_b32 s2, s2, exec_lo
	s_and_b32 s14, s14, exec_lo
	s_or_b32 s17, s17, s2
	s_or_b32 s16, s16, s14
	s_branch .LBB6_31
.LBB6_38:
	s_or_b32 exec_lo, exec_lo, s8
.LBB6_39:
	s_delay_alu instid0(SALU_CYCLE_1)
	s_or_b32 exec_lo, exec_lo, s3
.LBB6_40:
	v_mbcnt_lo_u32_b32 v1, -1, 0
	s_mov_b32 s2, exec_lo
	s_barrier
	buffer_gl0_inv
	v_xor_b32_e32 v2, 4, v1
	v_xor_b32_e32 v3, 2, v1
	v_xor_b32_e32 v9, 1, v1
	s_delay_alu instid0(VALU_DEP_3) | instskip(SKIP_1) | instid1(VALU_DEP_4)
	v_cmp_gt_i32_e32 vcc_lo, 32, v2
	v_cndmask_b32_e32 v2, v1, v2, vcc_lo
	v_cmp_gt_i32_e32 vcc_lo, 32, v3
	v_cndmask_b32_e32 v3, v1, v3, vcc_lo
	v_cmp_gt_i32_e32 vcc_lo, 32, v9
	s_delay_alu instid0(VALU_DEP_2)
	v_lshlrev_b32_e32 v3, 2, v3
	v_dual_cndmask_b32 v9, v1, v9 :: v_dual_lshlrev_b32 v2, 2, v2
	ds_bpermute_b32 v8, v2, v7
	s_waitcnt lgkmcnt(0)
	v_add_nc_u32_e32 v7, v8, v7
	ds_bpermute_b32 v8, v3, v7
	s_waitcnt lgkmcnt(0)
	v_add_nc_u32_e32 v8, v8, v7
	v_lshlrev_b32_e32 v7, 2, v9
	ds_bpermute_b32 v9, v7, v8
	v_cmpx_eq_u32_e32 7, v6
	s_cbranch_execz .LBB6_42
; %bb.41:
	v_lshl_add_u32 v5, v5, 2, 0
	s_waitcnt lgkmcnt(0)
	v_add_nc_u32_e32 v6, v9, v8
	ds_store_b32 v5, v6
.LBB6_42:
	s_or_b32 exec_lo, exec_lo, s2
	v_mov_b32_e32 v5, 0
	s_mov_b32 s2, exec_lo
	s_waitcnt lgkmcnt(0)
	s_barrier
	buffer_gl0_inv
	v_cmpx_gt_u32_e32 16, v0
	s_cbranch_execz .LBB6_44
; %bb.43:
	ds_load_b32 v5, v4
.LBB6_44:
	s_or_b32 exec_lo, exec_lo, s2
	v_xor_b32_e32 v4, 8, v1
	s_mov_b32 s2, exec_lo
	s_delay_alu instid0(VALU_DEP_1) | instskip(SKIP_1) | instid1(VALU_DEP_1)
	v_cmp_gt_i32_e32 vcc_lo, 32, v4
	v_cndmask_b32_e32 v1, v1, v4, vcc_lo
	v_lshlrev_b32_e32 v1, 2, v1
	s_waitcnt lgkmcnt(0)
	ds_bpermute_b32 v1, v1, v5
	s_waitcnt lgkmcnt(0)
	v_add_nc_u32_e32 v1, v1, v5
	ds_bpermute_b32 v2, v2, v1
	s_waitcnt lgkmcnt(0)
	v_add_nc_u32_e32 v1, v2, v1
	;; [unrolled: 3-line block ×3, first 2 shown]
	ds_bpermute_b32 v2, v7, v1
	v_cmpx_eq_u32_e32 15, v0
	s_cbranch_execz .LBB6_46
; %bb.45:
	s_load_b64 s[0:1], s[0:1], 0x40
	s_ashr_i32 s13, s12, 31
	s_waitcnt lgkmcnt(0)
	v_dual_mov_b32 v0, 0 :: v_dual_add_nc_u32 v1, v2, v1
	s_lshl_b64 s[2:3], s[12:13], 2
	s_delay_alu instid0(SALU_CYCLE_1)
	s_add_u32 s0, s0, s2
	s_addc_u32 s1, s1, s3
	global_store_b32 v0, v1, s[0:1]
.LBB6_46:
	s_nop 0
	s_sendmsg sendmsg(MSG_DEALLOC_VGPRS)
	s_endpgm
	.section	.rodata,"a",@progbits
	.p2align	6, 0x0
	.amdhsa_kernel _ZN9rocsparseL25csrgemm_nnz_block_per_rowILj128ELj8ELj1024ELj79EiiEEvPKT4_S3_PKT3_S3_S6_S3_S6_S3_PS4_21rocsparse_index_base_S8_S8_bb
		.amdhsa_group_segment_fixed_size 0
		.amdhsa_private_segment_fixed_size 0
		.amdhsa_kernarg_size 88
		.amdhsa_user_sgpr_count 15
		.amdhsa_user_sgpr_dispatch_ptr 0
		.amdhsa_user_sgpr_queue_ptr 0
		.amdhsa_user_sgpr_kernarg_segment_ptr 1
		.amdhsa_user_sgpr_dispatch_id 0
		.amdhsa_user_sgpr_private_segment_size 0
		.amdhsa_wavefront_size32 1
		.amdhsa_uses_dynamic_stack 0
		.amdhsa_enable_private_segment 0
		.amdhsa_system_sgpr_workgroup_id_x 1
		.amdhsa_system_sgpr_workgroup_id_y 0
		.amdhsa_system_sgpr_workgroup_id_z 0
		.amdhsa_system_sgpr_workgroup_info 0
		.amdhsa_system_vgpr_workitem_id 0
		.amdhsa_next_free_vgpr 14
		.amdhsa_next_free_sgpr 27
		.amdhsa_reserve_vcc 1
		.amdhsa_float_round_mode_32 0
		.amdhsa_float_round_mode_16_64 0
		.amdhsa_float_denorm_mode_32 3
		.amdhsa_float_denorm_mode_16_64 3
		.amdhsa_dx10_clamp 1
		.amdhsa_ieee_mode 1
		.amdhsa_fp16_overflow 0
		.amdhsa_workgroup_processor_mode 1
		.amdhsa_memory_ordered 1
		.amdhsa_forward_progress 0
		.amdhsa_shared_vgpr_count 0
		.amdhsa_exception_fp_ieee_invalid_op 0
		.amdhsa_exception_fp_denorm_src 0
		.amdhsa_exception_fp_ieee_div_zero 0
		.amdhsa_exception_fp_ieee_overflow 0
		.amdhsa_exception_fp_ieee_underflow 0
		.amdhsa_exception_fp_ieee_inexact 0
		.amdhsa_exception_int_div_zero 0
	.end_amdhsa_kernel
	.section	.text._ZN9rocsparseL25csrgemm_nnz_block_per_rowILj128ELj8ELj1024ELj79EiiEEvPKT4_S3_PKT3_S3_S6_S3_S6_S3_PS4_21rocsparse_index_base_S8_S8_bb,"axG",@progbits,_ZN9rocsparseL25csrgemm_nnz_block_per_rowILj128ELj8ELj1024ELj79EiiEEvPKT4_S3_PKT3_S3_S6_S3_S6_S3_PS4_21rocsparse_index_base_S8_S8_bb,comdat
.Lfunc_end6:
	.size	_ZN9rocsparseL25csrgemm_nnz_block_per_rowILj128ELj8ELj1024ELj79EiiEEvPKT4_S3_PKT3_S3_S6_S3_S6_S3_PS4_21rocsparse_index_base_S8_S8_bb, .Lfunc_end6-_ZN9rocsparseL25csrgemm_nnz_block_per_rowILj128ELj8ELj1024ELj79EiiEEvPKT4_S3_PKT3_S3_S6_S3_S6_S3_PS4_21rocsparse_index_base_S8_S8_bb
                                        ; -- End function
	.section	.AMDGPU.csdata,"",@progbits
; Kernel info:
; codeLenInByte = 1836
; NumSgprs: 29
; NumVgprs: 14
; ScratchSize: 0
; MemoryBound: 0
; FloatMode: 240
; IeeeMode: 1
; LDSByteSize: 0 bytes/workgroup (compile time only)
; SGPRBlocks: 3
; VGPRBlocks: 1
; NumSGPRsForWavesPerEU: 29
; NumVGPRsForWavesPerEU: 14
; Occupancy: 16
; WaveLimiterHint : 1
; COMPUTE_PGM_RSRC2:SCRATCH_EN: 0
; COMPUTE_PGM_RSRC2:USER_SGPR: 15
; COMPUTE_PGM_RSRC2:TRAP_HANDLER: 0
; COMPUTE_PGM_RSRC2:TGID_X_EN: 1
; COMPUTE_PGM_RSRC2:TGID_Y_EN: 0
; COMPUTE_PGM_RSRC2:TGID_Z_EN: 0
; COMPUTE_PGM_RSRC2:TIDIG_COMP_CNT: 0
	.section	.text._ZN9rocsparseL25csrgemm_nnz_block_per_rowILj256ELj16ELj2048ELj79EiiEEvPKT4_S3_PKT3_S3_S6_S3_S6_S3_PS4_21rocsparse_index_base_S8_S8_bb,"axG",@progbits,_ZN9rocsparseL25csrgemm_nnz_block_per_rowILj256ELj16ELj2048ELj79EiiEEvPKT4_S3_PKT3_S3_S6_S3_S6_S3_PS4_21rocsparse_index_base_S8_S8_bb,comdat
	.globl	_ZN9rocsparseL25csrgemm_nnz_block_per_rowILj256ELj16ELj2048ELj79EiiEEvPKT4_S3_PKT3_S3_S6_S3_S6_S3_PS4_21rocsparse_index_base_S8_S8_bb ; -- Begin function _ZN9rocsparseL25csrgemm_nnz_block_per_rowILj256ELj16ELj2048ELj79EiiEEvPKT4_S3_PKT3_S3_S6_S3_S6_S3_PS4_21rocsparse_index_base_S8_S8_bb
	.p2align	8
	.type	_ZN9rocsparseL25csrgemm_nnz_block_per_rowILj256ELj16ELj2048ELj79EiiEEvPKT4_S3_PKT3_S3_S6_S3_S6_S3_PS4_21rocsparse_index_base_S8_S8_bb,@function
_ZN9rocsparseL25csrgemm_nnz_block_per_rowILj256ELj16ELj2048ELj79EiiEEvPKT4_S3_PKT3_S3_S6_S3_S6_S3_PS4_21rocsparse_index_base_S8_S8_bb: ; @_ZN9rocsparseL25csrgemm_nnz_block_per_rowILj256ELj16ELj2048ELj79EiiEEvPKT4_S3_PKT3_S3_S6_S3_S6_S3_PS4_21rocsparse_index_base_S8_S8_bb
; %bb.0:
	s_load_b128 s[4:7], s[0:1], 0x0
	s_mov_b32 s3, 0
	v_or_b32_e32 v2, 0x400, v0
	v_lshl_add_u32 v4, v0, 2, 0
	v_mov_b32_e32 v1, -1
	s_waitcnt lgkmcnt(0)
	s_load_b32 s2, s[4:5], 0x0
	s_waitcnt lgkmcnt(0)
	s_add_i32 s2, s2, s15
	s_delay_alu instid0(SALU_CYCLE_1) | instskip(NEXT) | instid1(SALU_CYCLE_1)
	s_lshl_b64 s[2:3], s[2:3], 2
	s_add_u32 s2, s6, s2
	s_addc_u32 s3, s7, s3
	s_load_b32 s12, s[2:3], 0x0
	s_mov_b32 s2, exec_lo
	ds_store_2addr_stride64_b32 v4, v1, v1 offset1:4
	ds_store_2addr_stride64_b32 v4, v1, v1 offset0:8 offset1:12
	ds_store_b32 v4, v1 offset:4096
	v_cmpx_gt_u32_e32 0x700, v2
	s_cbranch_execz .LBB7_4
; %bb.1:
	ds_store_b32 v4, v1 offset:5120
	s_mov_b32 s3, exec_lo
	v_cmpx_gt_u32_e32 0x200, v0
	s_xor_b32 s3, exec_lo, s3
	s_cbranch_execz .LBB7_4
; %bb.2:
	v_mov_b32_e32 v1, -1
	s_mov_b32 s3, exec_lo
	ds_store_b32 v4, v1 offset:6144
	v_cmpx_gt_u32_e32 0x100, v0
	s_xor_b32 s3, exec_lo, s3
	s_cbranch_execz .LBB7_4
; %bb.3:
	ds_store_b32 v4, v1 offset:7168
.LBB7_4:
	s_or_b32 exec_lo, exec_lo, s2
	s_load_b128 s[4:7], s[0:1], 0x48
	v_dual_mov_b32 v7, 0 :: v_dual_and_b32 v6, 15, v0
	v_lshrrev_b32_e32 v5, 4, v0
	s_waitcnt lgkmcnt(0)
	s_barrier
	buffer_gl0_inv
	s_bitcmp1_b32 s7, 0
	s_cselect_b32 s2, -1, 0
	s_delay_alu instid0(SALU_CYCLE_1)
	s_and_b32 vcc_lo, exec_lo, s2
	s_cbranch_vccz .LBB7_22
; %bb.5:
	s_load_b64 s[2:3], s[0:1], 0x10
	s_ashr_i32 s13, s12, 31
	v_subrev_nc_u32_e32 v1, s4, v5
	s_lshl_b64 s[8:9], s[12:13], 2
	v_mov_b32_e32 v7, 0
	s_waitcnt lgkmcnt(0)
	s_add_u32 s2, s2, s8
	s_addc_u32 s3, s3, s9
	s_load_b64 s[2:3], s[2:3], 0x0
	s_waitcnt lgkmcnt(0)
	v_add_nc_u32_e32 v1, s2, v1
	s_sub_i32 s7, s3, s4
	s_mov_b32 s3, exec_lo
	s_delay_alu instid0(VALU_DEP_1)
	v_cmpx_gt_i32_e64 s7, v1
	s_cbranch_execz .LBB7_21
; %bb.6:
	s_clause 0x1
	s_load_b128 s[8:11], s[0:1], 0x18
	s_load_b64 s[14:15], s[0:1], 0x28
	v_subrev_nc_u32_e32 v8, s5, v6
	v_mov_b32_e32 v7, 0
	v_mov_b32_e32 v9, -1
	s_mov_b32 s13, 0
	s_branch .LBB7_9
.LBB7_7:                                ;   in Loop: Header=BB7_9 Depth=1
	s_or_b32 exec_lo, exec_lo, s17
.LBB7_8:                                ;   in Loop: Header=BB7_9 Depth=1
	s_delay_alu instid0(SALU_CYCLE_1) | instskip(SKIP_1) | instid1(VALU_DEP_1)
	s_or_b32 exec_lo, exec_lo, s16
	v_add_nc_u32_e32 v1, 16, v1
	v_cmp_le_i32_e32 vcc_lo, s7, v1
	s_or_b32 s13, vcc_lo, s13
	s_delay_alu instid0(SALU_CYCLE_1)
	s_and_not1_b32 exec_lo, exec_lo, s13
	s_cbranch_execz .LBB7_20
.LBB7_9:                                ; =>This Loop Header: Depth=1
                                        ;     Child Loop BB7_12 Depth 2
                                        ;       Child Loop BB7_15 Depth 3
	v_ashrrev_i32_e32 v2, 31, v1
	s_mov_b32 s16, exec_lo
	s_delay_alu instid0(VALU_DEP_1) | instskip(SKIP_1) | instid1(VALU_DEP_1)
	v_lshlrev_b64 v[2:3], 2, v[1:2]
	s_waitcnt lgkmcnt(0)
	v_add_co_u32 v2, vcc_lo, s8, v2
	s_delay_alu instid0(VALU_DEP_2) | instskip(SKIP_3) | instid1(VALU_DEP_1)
	v_add_co_ci_u32_e32 v3, vcc_lo, s9, v3, vcc_lo
	global_load_b32 v2, v[2:3], off
	s_waitcnt vmcnt(0)
	v_subrev_nc_u32_e32 v2, s4, v2
	v_ashrrev_i32_e32 v3, 31, v2
	s_delay_alu instid0(VALU_DEP_1) | instskip(NEXT) | instid1(VALU_DEP_1)
	v_lshlrev_b64 v[2:3], 2, v[2:3]
	v_add_co_u32 v2, vcc_lo, s10, v2
	s_delay_alu instid0(VALU_DEP_2) | instskip(SKIP_4) | instid1(VALU_DEP_1)
	v_add_co_ci_u32_e32 v3, vcc_lo, s11, v3, vcc_lo
	global_load_b64 v[2:3], v[2:3], off
	s_waitcnt vmcnt(0)
	v_subrev_nc_u32_e32 v10, s5, v3
	v_add_nc_u32_e32 v2, v8, v2
	v_cmpx_lt_i32_e64 v2, v10
	s_cbranch_execz .LBB7_8
; %bb.10:                               ;   in Loop: Header=BB7_9 Depth=1
	s_mov_b32 s17, 0
	s_branch .LBB7_12
.LBB7_11:                               ;   in Loop: Header=BB7_12 Depth=2
	s_or_b32 exec_lo, exec_lo, s19
	v_add_nc_u32_e32 v2, 16, v2
	v_cndmask_b32_e64 v3, 0, 1, s18
	s_delay_alu instid0(VALU_DEP_2) | instskip(NEXT) | instid1(VALU_DEP_2)
	v_cmp_ge_i32_e32 vcc_lo, v2, v10
	v_add_nc_u32_e32 v7, v7, v3
	s_or_b32 s17, vcc_lo, s17
	s_delay_alu instid0(SALU_CYCLE_1)
	s_and_not1_b32 exec_lo, exec_lo, s17
	s_cbranch_execz .LBB7_7
.LBB7_12:                               ;   Parent Loop BB7_9 Depth=1
                                        ; =>  This Loop Header: Depth=2
                                        ;       Child Loop BB7_15 Depth 3
	v_ashrrev_i32_e32 v3, 31, v2
	s_mov_b32 s19, 0
                                        ; implicit-def: $sgpr18
                                        ; implicit-def: $sgpr20
                                        ; implicit-def: $sgpr21
                                        ; implicit-def: $sgpr22
	s_delay_alu instid0(VALU_DEP_1) | instskip(NEXT) | instid1(VALU_DEP_1)
	v_lshlrev_b64 v[11:12], 2, v[2:3]
	v_add_co_u32 v11, vcc_lo, s14, v11
	s_delay_alu instid0(VALU_DEP_2) | instskip(SKIP_3) | instid1(VALU_DEP_1)
	v_add_co_ci_u32_e32 v12, vcc_lo, s15, v12, vcc_lo
	global_load_b32 v3, v[11:12], off
	s_waitcnt vmcnt(0)
	v_subrev_nc_u32_e32 v3, s5, v3
	v_mul_lo_u32 v11, 0x4f, v3
	s_delay_alu instid0(VALU_DEP_1)
	v_and_b32_e32 v11, 0x7ff, v11
	s_branch .LBB7_15
.LBB7_13:                               ;   in Loop: Header=BB7_15 Depth=3
	s_or_b32 exec_lo, exec_lo, s26
	s_delay_alu instid0(SALU_CYCLE_1)
	s_and_not1_b32 s2, s21, exec_lo
	s_and_b32 s21, s24, exec_lo
	s_and_not1_b32 s20, s20, exec_lo
	s_and_b32 s22, s25, exec_lo
	s_or_b32 s21, s2, s21
	s_or_b32 s20, s20, s22
                                        ; implicit-def: $sgpr22
.LBB7_14:                               ;   in Loop: Header=BB7_15 Depth=3
	s_or_b32 exec_lo, exec_lo, s23
	s_xor_b32 s2, s20, -1
	s_delay_alu instid0(SALU_CYCLE_1) | instskip(NEXT) | instid1(SALU_CYCLE_1)
	s_and_b32 s2, exec_lo, s2
	s_or_b32 s19, s2, s19
	s_and_not1_b32 s2, s22, exec_lo
	s_and_b32 s23, s21, exec_lo
	s_and_not1_b32 s18, s18, exec_lo
	s_or_b32 s22, s2, s23
	s_or_b32 s18, s18, s23
	s_and_not1_b32 exec_lo, exec_lo, s19
	s_cbranch_execz .LBB7_11
.LBB7_15:                               ;   Parent Loop BB7_9 Depth=1
                                        ;     Parent Loop BB7_12 Depth=2
                                        ; =>    This Inner Loop Header: Depth=3
	s_delay_alu instid0(VALU_DEP_1)
	v_lshl_add_u32 v12, v11, 2, 0
	s_and_not1_b32 s21, s21, exec_lo
	s_and_not1_b32 s20, s20, exec_lo
	s_mov_b32 s23, exec_lo
	ds_load_b32 v13, v12
	s_waitcnt lgkmcnt(0)
	v_cmpx_ne_u32_e64 v13, v3
	s_cbranch_execz .LBB7_14
; %bb.16:                               ;   in Loop: Header=BB7_15 Depth=3
	s_mov_b32 s2, exec_lo
                                        ; implicit-def: $sgpr24
                                        ; implicit-def: $sgpr25
	v_cmpx_ne_u32_e32 -1, v13
	s_xor_b32 s2, exec_lo, s2
; %bb.17:                               ;   in Loop: Header=BB7_15 Depth=3
	v_add_nc_u32_e32 v11, 1, v11
	s_mov_b32 s25, -1
	s_and_b32 s24, s22, exec_lo
                                        ; implicit-def: $vgpr12
	s_delay_alu instid0(VALU_DEP_1)
	v_and_b32_e32 v11, 0x7ff, v11
; %bb.18:                               ;   in Loop: Header=BB7_15 Depth=3
	s_and_not1_saveexec_b32 s26, s2
	s_cbranch_execz .LBB7_13
; %bb.19:                               ;   in Loop: Header=BB7_15 Depth=3
	ds_cmpstore_rtn_b32 v12, v12, v3, v9
	s_and_not1_b32 s25, s25, exec_lo
	s_and_not1_b32 s24, s24, exec_lo
	s_waitcnt lgkmcnt(0)
	v_cmp_eq_u32_e32 vcc_lo, -1, v12
	v_cmp_ne_u32_e64 s2, -1, v12
	s_or_b32 s22, vcc_lo, s22
	s_delay_alu instid0(VALU_DEP_1)
	s_and_b32 s2, s2, exec_lo
	s_and_b32 s22, s22, exec_lo
	s_or_b32 s25, s25, s2
	s_or_b32 s24, s24, s22
	s_branch .LBB7_13
.LBB7_20:
	s_or_b32 exec_lo, exec_lo, s13
.LBB7_21:
	s_delay_alu instid0(SALU_CYCLE_1)
	s_or_b32 exec_lo, exec_lo, s3
.LBB7_22:
	s_load_b32 s2, s[0:1], 0x54
	s_waitcnt lgkmcnt(0)
	s_bfe_u32 s2, s2, 0x10008
	s_delay_alu instid0(SALU_CYCLE_1)
	s_cmp_eq_u32 s2, 0
	s_cbranch_scc1 .LBB7_36
; %bb.23:
	s_load_b64 s[2:3], s[0:1], 0x30
	s_ashr_i32 s13, s12, 31
	v_subrev_nc_u32_e32 v1, s6, v5
	s_lshl_b64 s[4:5], s[12:13], 2
	s_waitcnt lgkmcnt(0)
	s_add_u32 s2, s2, s4
	s_addc_u32 s3, s3, s5
	s_load_b64 s[2:3], s[2:3], 0x0
	s_waitcnt lgkmcnt(0)
	v_add_nc_u32_e32 v1, s2, v1
	s_sub_i32 s7, s3, s6
	s_mov_b32 s3, exec_lo
	s_delay_alu instid0(VALU_DEP_1)
	v_cmpx_gt_i32_e64 s7, v1
	s_cbranch_execz .LBB7_35
; %bb.24:
	s_load_b64 s[4:5], s[0:1], 0x38
	v_mov_b32_e32 v3, -1
	s_mov_b32 s8, 0
	s_branch .LBB7_26
.LBB7_25:                               ;   in Loop: Header=BB7_26 Depth=1
	s_or_b32 exec_lo, exec_lo, s10
	v_add_nc_u32_e32 v1, 16, v1
	v_cndmask_b32_e64 v2, 0, 1, s9
	s_delay_alu instid0(VALU_DEP_2) | instskip(NEXT) | instid1(VALU_DEP_2)
	v_cmp_le_i32_e32 vcc_lo, s7, v1
	v_add_nc_u32_e32 v7, v7, v2
	s_or_b32 s8, vcc_lo, s8
	s_delay_alu instid0(SALU_CYCLE_1)
	s_and_not1_b32 exec_lo, exec_lo, s8
	s_cbranch_execz .LBB7_34
.LBB7_26:                               ; =>This Loop Header: Depth=1
                                        ;     Child Loop BB7_29 Depth 2
	v_ashrrev_i32_e32 v2, 31, v1
	s_mov_b32 s10, 0
                                        ; implicit-def: $sgpr9
                                        ; implicit-def: $sgpr11
                                        ; implicit-def: $sgpr13
                                        ; implicit-def: $sgpr14
	s_delay_alu instid0(VALU_DEP_1) | instskip(SKIP_1) | instid1(VALU_DEP_1)
	v_lshlrev_b64 v[8:9], 2, v[1:2]
	s_waitcnt lgkmcnt(0)
	v_add_co_u32 v8, vcc_lo, s4, v8
	s_delay_alu instid0(VALU_DEP_2) | instskip(SKIP_3) | instid1(VALU_DEP_1)
	v_add_co_ci_u32_e32 v9, vcc_lo, s5, v9, vcc_lo
	global_load_b32 v2, v[8:9], off
	s_waitcnt vmcnt(0)
	v_subrev_nc_u32_e32 v2, s6, v2
	v_mul_lo_u32 v8, 0x4f, v2
	s_delay_alu instid0(VALU_DEP_1)
	v_and_b32_e32 v8, 0x7ff, v8
	s_branch .LBB7_29
.LBB7_27:                               ;   in Loop: Header=BB7_29 Depth=2
	s_or_b32 exec_lo, exec_lo, s18
	s_delay_alu instid0(SALU_CYCLE_1)
	s_and_not1_b32 s2, s13, exec_lo
	s_and_b32 s13, s16, exec_lo
	s_and_not1_b32 s11, s11, exec_lo
	s_and_b32 s14, s17, exec_lo
	s_or_b32 s13, s2, s13
	s_or_b32 s11, s11, s14
                                        ; implicit-def: $sgpr14
.LBB7_28:                               ;   in Loop: Header=BB7_29 Depth=2
	s_or_b32 exec_lo, exec_lo, s15
	s_xor_b32 s2, s11, -1
	s_delay_alu instid0(SALU_CYCLE_1) | instskip(NEXT) | instid1(SALU_CYCLE_1)
	s_and_b32 s2, exec_lo, s2
	s_or_b32 s10, s2, s10
	s_and_not1_b32 s2, s14, exec_lo
	s_and_b32 s15, s13, exec_lo
	s_and_not1_b32 s9, s9, exec_lo
	s_or_b32 s14, s2, s15
	s_or_b32 s9, s9, s15
	s_and_not1_b32 exec_lo, exec_lo, s10
	s_cbranch_execz .LBB7_25
.LBB7_29:                               ;   Parent Loop BB7_26 Depth=1
                                        ; =>  This Inner Loop Header: Depth=2
	s_delay_alu instid0(VALU_DEP_1)
	v_lshl_add_u32 v9, v8, 2, 0
	s_and_not1_b32 s13, s13, exec_lo
	s_and_not1_b32 s11, s11, exec_lo
	s_mov_b32 s15, exec_lo
	ds_load_b32 v10, v9
	s_waitcnt lgkmcnt(0)
	v_cmpx_ne_u32_e64 v10, v2
	s_cbranch_execz .LBB7_28
; %bb.30:                               ;   in Loop: Header=BB7_29 Depth=2
	s_mov_b32 s2, exec_lo
                                        ; implicit-def: $sgpr16
                                        ; implicit-def: $sgpr17
	v_cmpx_ne_u32_e32 -1, v10
	s_xor_b32 s2, exec_lo, s2
; %bb.31:                               ;   in Loop: Header=BB7_29 Depth=2
	v_add_nc_u32_e32 v8, 1, v8
	s_mov_b32 s17, -1
	s_and_b32 s16, s14, exec_lo
                                        ; implicit-def: $vgpr9
	s_delay_alu instid0(VALU_DEP_1)
	v_and_b32_e32 v8, 0x7ff, v8
; %bb.32:                               ;   in Loop: Header=BB7_29 Depth=2
	s_and_not1_saveexec_b32 s18, s2
	s_cbranch_execz .LBB7_27
; %bb.33:                               ;   in Loop: Header=BB7_29 Depth=2
	ds_cmpstore_rtn_b32 v9, v9, v2, v3
	s_and_not1_b32 s17, s17, exec_lo
	s_and_not1_b32 s16, s16, exec_lo
	s_waitcnt lgkmcnt(0)
	v_cmp_eq_u32_e32 vcc_lo, -1, v9
	v_cmp_ne_u32_e64 s2, -1, v9
	s_or_b32 s14, vcc_lo, s14
	s_delay_alu instid0(VALU_DEP_1)
	s_and_b32 s2, s2, exec_lo
	s_and_b32 s14, s14, exec_lo
	s_or_b32 s17, s17, s2
	s_or_b32 s16, s16, s14
	s_branch .LBB7_27
.LBB7_34:
	s_or_b32 exec_lo, exec_lo, s8
.LBB7_35:
	s_delay_alu instid0(SALU_CYCLE_1)
	s_or_b32 exec_lo, exec_lo, s3
.LBB7_36:
	v_mbcnt_lo_u32_b32 v8, -1, 0
	s_mov_b32 s2, exec_lo
	s_barrier
	buffer_gl0_inv
	v_xor_b32_e32 v1, 8, v8
	v_xor_b32_e32 v2, 4, v8
	;; [unrolled: 1-line block ×3, first 2 shown]
	s_delay_alu instid0(VALU_DEP_3) | instskip(SKIP_1) | instid1(VALU_DEP_4)
	v_cmp_gt_i32_e32 vcc_lo, 32, v1
	v_cndmask_b32_e32 v1, v8, v1, vcc_lo
	v_cmp_gt_i32_e32 vcc_lo, 32, v2
	v_cndmask_b32_e32 v2, v8, v2, vcc_lo
	s_delay_alu instid0(VALU_DEP_1) | instskip(NEXT) | instid1(VALU_DEP_4)
	v_lshlrev_b32_e32 v2, 2, v2
	v_lshlrev_b32_e32 v1, 2, v1
	ds_bpermute_b32 v3, v1, v7
	s_waitcnt lgkmcnt(0)
	v_add_nc_u32_e32 v7, v3, v7
	v_xor_b32_e32 v3, 2, v8
	ds_bpermute_b32 v9, v2, v7
	v_cmp_gt_i32_e32 vcc_lo, 32, v3
	v_cndmask_b32_e32 v3, v8, v3, vcc_lo
	v_cmp_gt_i32_e32 vcc_lo, 32, v10
	s_delay_alu instid0(VALU_DEP_2)
	v_dual_cndmask_b32 v10, v8, v10 :: v_dual_lshlrev_b32 v3, 2, v3
	s_waitcnt lgkmcnt(0)
	v_add_nc_u32_e32 v7, v9, v7
	ds_bpermute_b32 v9, v3, v7
	s_waitcnt lgkmcnt(0)
	v_add_nc_u32_e32 v8, v9, v7
	v_lshlrev_b32_e32 v7, 2, v10
	ds_bpermute_b32 v9, v7, v8
	v_cmpx_eq_u32_e32 15, v6
	s_cbranch_execz .LBB7_38
; %bb.37:
	v_lshl_add_u32 v5, v5, 2, 0
	s_waitcnt lgkmcnt(0)
	v_add_nc_u32_e32 v6, v9, v8
	ds_store_b32 v5, v6
.LBB7_38:
	s_or_b32 exec_lo, exec_lo, s2
	v_mov_b32_e32 v5, 0
	s_mov_b32 s2, exec_lo
	s_waitcnt lgkmcnt(0)
	s_barrier
	buffer_gl0_inv
	v_cmpx_gt_u32_e32 16, v0
	s_cbranch_execz .LBB7_40
; %bb.39:
	ds_load_b32 v5, v4
.LBB7_40:
	s_or_b32 exec_lo, exec_lo, s2
	s_waitcnt lgkmcnt(0)
	ds_bpermute_b32 v1, v1, v5
	s_mov_b32 s2, exec_lo
	s_waitcnt lgkmcnt(0)
	v_add_nc_u32_e32 v1, v1, v5
	ds_bpermute_b32 v2, v2, v1
	s_waitcnt lgkmcnt(0)
	v_add_nc_u32_e32 v1, v2, v1
	ds_bpermute_b32 v2, v3, v1
	;; [unrolled: 3-line block ×3, first 2 shown]
	v_cmpx_eq_u32_e32 15, v0
	s_cbranch_execz .LBB7_42
; %bb.41:
	s_load_b64 s[0:1], s[0:1], 0x40
	s_ashr_i32 s13, s12, 31
	s_waitcnt lgkmcnt(0)
	v_dual_mov_b32 v0, 0 :: v_dual_add_nc_u32 v1, v2, v1
	s_lshl_b64 s[2:3], s[12:13], 2
	s_delay_alu instid0(SALU_CYCLE_1)
	s_add_u32 s0, s0, s2
	s_addc_u32 s1, s1, s3
	global_store_b32 v0, v1, s[0:1]
.LBB7_42:
	s_nop 0
	s_sendmsg sendmsg(MSG_DEALLOC_VGPRS)
	s_endpgm
	.section	.rodata,"a",@progbits
	.p2align	6, 0x0
	.amdhsa_kernel _ZN9rocsparseL25csrgemm_nnz_block_per_rowILj256ELj16ELj2048ELj79EiiEEvPKT4_S3_PKT3_S3_S6_S3_S6_S3_PS4_21rocsparse_index_base_S8_S8_bb
		.amdhsa_group_segment_fixed_size 0
		.amdhsa_private_segment_fixed_size 0
		.amdhsa_kernarg_size 88
		.amdhsa_user_sgpr_count 15
		.amdhsa_user_sgpr_dispatch_ptr 0
		.amdhsa_user_sgpr_queue_ptr 0
		.amdhsa_user_sgpr_kernarg_segment_ptr 1
		.amdhsa_user_sgpr_dispatch_id 0
		.amdhsa_user_sgpr_private_segment_size 0
		.amdhsa_wavefront_size32 1
		.amdhsa_uses_dynamic_stack 0
		.amdhsa_enable_private_segment 0
		.amdhsa_system_sgpr_workgroup_id_x 1
		.amdhsa_system_sgpr_workgroup_id_y 0
		.amdhsa_system_sgpr_workgroup_id_z 0
		.amdhsa_system_sgpr_workgroup_info 0
		.amdhsa_system_vgpr_workitem_id 0
		.amdhsa_next_free_vgpr 14
		.amdhsa_next_free_sgpr 27
		.amdhsa_reserve_vcc 1
		.amdhsa_float_round_mode_32 0
		.amdhsa_float_round_mode_16_64 0
		.amdhsa_float_denorm_mode_32 3
		.amdhsa_float_denorm_mode_16_64 3
		.amdhsa_dx10_clamp 1
		.amdhsa_ieee_mode 1
		.amdhsa_fp16_overflow 0
		.amdhsa_workgroup_processor_mode 1
		.amdhsa_memory_ordered 1
		.amdhsa_forward_progress 0
		.amdhsa_shared_vgpr_count 0
		.amdhsa_exception_fp_ieee_invalid_op 0
		.amdhsa_exception_fp_denorm_src 0
		.amdhsa_exception_fp_ieee_div_zero 0
		.amdhsa_exception_fp_ieee_overflow 0
		.amdhsa_exception_fp_ieee_underflow 0
		.amdhsa_exception_fp_ieee_inexact 0
		.amdhsa_exception_int_div_zero 0
	.end_amdhsa_kernel
	.section	.text._ZN9rocsparseL25csrgemm_nnz_block_per_rowILj256ELj16ELj2048ELj79EiiEEvPKT4_S3_PKT3_S3_S6_S3_S6_S3_PS4_21rocsparse_index_base_S8_S8_bb,"axG",@progbits,_ZN9rocsparseL25csrgemm_nnz_block_per_rowILj256ELj16ELj2048ELj79EiiEEvPKT4_S3_PKT3_S3_S6_S3_S6_S3_PS4_21rocsparse_index_base_S8_S8_bb,comdat
.Lfunc_end7:
	.size	_ZN9rocsparseL25csrgemm_nnz_block_per_rowILj256ELj16ELj2048ELj79EiiEEvPKT4_S3_PKT3_S3_S6_S3_S6_S3_PS4_21rocsparse_index_base_S8_S8_bb, .Lfunc_end7-_ZN9rocsparseL25csrgemm_nnz_block_per_rowILj256ELj16ELj2048ELj79EiiEEvPKT4_S3_PKT3_S3_S6_S3_S6_S3_PS4_21rocsparse_index_base_S8_S8_bb
                                        ; -- End function
	.section	.AMDGPU.csdata,"",@progbits
; Kernel info:
; codeLenInByte = 1756
; NumSgprs: 29
; NumVgprs: 14
; ScratchSize: 0
; MemoryBound: 0
; FloatMode: 240
; IeeeMode: 1
; LDSByteSize: 0 bytes/workgroup (compile time only)
; SGPRBlocks: 3
; VGPRBlocks: 1
; NumSGPRsForWavesPerEU: 29
; NumVGPRsForWavesPerEU: 14
; Occupancy: 16
; WaveLimiterHint : 1
; COMPUTE_PGM_RSRC2:SCRATCH_EN: 0
; COMPUTE_PGM_RSRC2:USER_SGPR: 15
; COMPUTE_PGM_RSRC2:TRAP_HANDLER: 0
; COMPUTE_PGM_RSRC2:TGID_X_EN: 1
; COMPUTE_PGM_RSRC2:TGID_Y_EN: 0
; COMPUTE_PGM_RSRC2:TGID_Z_EN: 0
; COMPUTE_PGM_RSRC2:TIDIG_COMP_CNT: 0
	.section	.text._ZN9rocsparseL25csrgemm_nnz_block_per_rowILj512ELj16ELj4096ELj79EiiEEvPKT4_S3_PKT3_S3_S6_S3_S6_S3_PS4_21rocsparse_index_base_S8_S8_bb,"axG",@progbits,_ZN9rocsparseL25csrgemm_nnz_block_per_rowILj512ELj16ELj4096ELj79EiiEEvPKT4_S3_PKT3_S3_S6_S3_S6_S3_PS4_21rocsparse_index_base_S8_S8_bb,comdat
	.globl	_ZN9rocsparseL25csrgemm_nnz_block_per_rowILj512ELj16ELj4096ELj79EiiEEvPKT4_S3_PKT3_S3_S6_S3_S6_S3_PS4_21rocsparse_index_base_S8_S8_bb ; -- Begin function _ZN9rocsparseL25csrgemm_nnz_block_per_rowILj512ELj16ELj4096ELj79EiiEEvPKT4_S3_PKT3_S3_S6_S3_S6_S3_PS4_21rocsparse_index_base_S8_S8_bb
	.p2align	8
	.type	_ZN9rocsparseL25csrgemm_nnz_block_per_rowILj512ELj16ELj4096ELj79EiiEEvPKT4_S3_PKT3_S3_S6_S3_S6_S3_PS4_21rocsparse_index_base_S8_S8_bb,@function
_ZN9rocsparseL25csrgemm_nnz_block_per_rowILj512ELj16ELj4096ELj79EiiEEvPKT4_S3_PKT3_S3_S6_S3_S6_S3_PS4_21rocsparse_index_base_S8_S8_bb: ; @_ZN9rocsparseL25csrgemm_nnz_block_per_rowILj512ELj16ELj4096ELj79EiiEEvPKT4_S3_PKT3_S3_S6_S3_S6_S3_PS4_21rocsparse_index_base_S8_S8_bb
; %bb.0:
	s_load_b128 s[4:7], s[0:1], 0x0
	s_mov_b32 s3, 0
	v_lshl_add_u32 v4, v0, 2, 0
	v_or_b32_e32 v2, 0xc00, v0
	v_mov_b32_e32 v1, -1
	s_waitcnt lgkmcnt(0)
	s_load_b32 s2, s[4:5], 0x0
	s_waitcnt lgkmcnt(0)
	s_add_i32 s2, s2, s15
	s_delay_alu instid0(SALU_CYCLE_1) | instskip(NEXT) | instid1(SALU_CYCLE_1)
	s_lshl_b64 s[2:3], s[2:3], 2
	s_add_u32 s2, s6, s2
	s_addc_u32 s3, s7, s3
	s_load_b32 s12, s[2:3], 0x0
	s_mov_b32 s2, exec_lo
	ds_store_2addr_stride64_b32 v4, v1, v1 offset1:8
	ds_store_2addr_stride64_b32 v4, v1, v1 offset0:16 offset1:24
	ds_store_2addr_stride64_b32 v4, v1, v1 offset0:32 offset1:40
	ds_store_b32 v4, v1 offset:12288
	v_cmpx_gt_u32_e32 0xe00, v2
	s_cbranch_execz .LBB8_2
; %bb.1:
	ds_store_b32 v4, v1 offset:14336
.LBB8_2:
	s_or_b32 exec_lo, exec_lo, s2
	s_load_b128 s[4:7], s[0:1], 0x48
	v_dual_mov_b32 v7, 0 :: v_dual_and_b32 v6, 15, v0
	v_lshrrev_b32_e32 v5, 4, v0
	s_waitcnt lgkmcnt(0)
	s_barrier
	buffer_gl0_inv
	s_bitcmp1_b32 s7, 0
	s_cselect_b32 s2, -1, 0
	s_delay_alu instid0(SALU_CYCLE_1)
	s_and_b32 vcc_lo, exec_lo, s2
	s_cbranch_vccz .LBB8_20
; %bb.3:
	s_load_b64 s[2:3], s[0:1], 0x10
	s_ashr_i32 s13, s12, 31
	v_subrev_nc_u32_e32 v1, s4, v5
	s_lshl_b64 s[8:9], s[12:13], 2
	v_mov_b32_e32 v7, 0
	s_waitcnt lgkmcnt(0)
	s_add_u32 s2, s2, s8
	s_addc_u32 s3, s3, s9
	s_load_b64 s[2:3], s[2:3], 0x0
	s_waitcnt lgkmcnt(0)
	v_add_nc_u32_e32 v1, s2, v1
	s_sub_i32 s7, s3, s4
	s_mov_b32 s3, exec_lo
	s_delay_alu instid0(VALU_DEP_1)
	v_cmpx_gt_i32_e64 s7, v1
	s_cbranch_execz .LBB8_19
; %bb.4:
	s_clause 0x1
	s_load_b128 s[8:11], s[0:1], 0x18
	s_load_b64 s[14:15], s[0:1], 0x28
	v_subrev_nc_u32_e32 v8, s5, v6
	v_mov_b32_e32 v7, 0
	v_mov_b32_e32 v9, -1
	s_mov_b32 s13, 0
	s_branch .LBB8_7
.LBB8_5:                                ;   in Loop: Header=BB8_7 Depth=1
	s_or_b32 exec_lo, exec_lo, s17
.LBB8_6:                                ;   in Loop: Header=BB8_7 Depth=1
	s_delay_alu instid0(SALU_CYCLE_1) | instskip(SKIP_1) | instid1(VALU_DEP_1)
	s_or_b32 exec_lo, exec_lo, s16
	v_add_nc_u32_e32 v1, 32, v1
	v_cmp_le_i32_e32 vcc_lo, s7, v1
	s_or_b32 s13, vcc_lo, s13
	s_delay_alu instid0(SALU_CYCLE_1)
	s_and_not1_b32 exec_lo, exec_lo, s13
	s_cbranch_execz .LBB8_18
.LBB8_7:                                ; =>This Loop Header: Depth=1
                                        ;     Child Loop BB8_10 Depth 2
                                        ;       Child Loop BB8_13 Depth 3
	v_ashrrev_i32_e32 v2, 31, v1
	s_mov_b32 s16, exec_lo
	s_delay_alu instid0(VALU_DEP_1) | instskip(SKIP_1) | instid1(VALU_DEP_1)
	v_lshlrev_b64 v[2:3], 2, v[1:2]
	s_waitcnt lgkmcnt(0)
	v_add_co_u32 v2, vcc_lo, s8, v2
	s_delay_alu instid0(VALU_DEP_2) | instskip(SKIP_3) | instid1(VALU_DEP_1)
	v_add_co_ci_u32_e32 v3, vcc_lo, s9, v3, vcc_lo
	global_load_b32 v2, v[2:3], off
	s_waitcnt vmcnt(0)
	v_subrev_nc_u32_e32 v2, s4, v2
	v_ashrrev_i32_e32 v3, 31, v2
	s_delay_alu instid0(VALU_DEP_1) | instskip(NEXT) | instid1(VALU_DEP_1)
	v_lshlrev_b64 v[2:3], 2, v[2:3]
	v_add_co_u32 v2, vcc_lo, s10, v2
	s_delay_alu instid0(VALU_DEP_2) | instskip(SKIP_4) | instid1(VALU_DEP_1)
	v_add_co_ci_u32_e32 v3, vcc_lo, s11, v3, vcc_lo
	global_load_b64 v[2:3], v[2:3], off
	s_waitcnt vmcnt(0)
	v_subrev_nc_u32_e32 v10, s5, v3
	v_add_nc_u32_e32 v2, v8, v2
	v_cmpx_lt_i32_e64 v2, v10
	s_cbranch_execz .LBB8_6
; %bb.8:                                ;   in Loop: Header=BB8_7 Depth=1
	s_mov_b32 s17, 0
	s_branch .LBB8_10
.LBB8_9:                                ;   in Loop: Header=BB8_10 Depth=2
	s_or_b32 exec_lo, exec_lo, s19
	v_add_nc_u32_e32 v2, 16, v2
	v_cndmask_b32_e64 v3, 0, 1, s18
	s_delay_alu instid0(VALU_DEP_2) | instskip(NEXT) | instid1(VALU_DEP_2)
	v_cmp_ge_i32_e32 vcc_lo, v2, v10
	v_add_nc_u32_e32 v7, v7, v3
	s_or_b32 s17, vcc_lo, s17
	s_delay_alu instid0(SALU_CYCLE_1)
	s_and_not1_b32 exec_lo, exec_lo, s17
	s_cbranch_execz .LBB8_5
.LBB8_10:                               ;   Parent Loop BB8_7 Depth=1
                                        ; =>  This Loop Header: Depth=2
                                        ;       Child Loop BB8_13 Depth 3
	v_ashrrev_i32_e32 v3, 31, v2
	s_mov_b32 s19, 0
                                        ; implicit-def: $sgpr18
                                        ; implicit-def: $sgpr20
                                        ; implicit-def: $sgpr21
                                        ; implicit-def: $sgpr22
	s_delay_alu instid0(VALU_DEP_1) | instskip(NEXT) | instid1(VALU_DEP_1)
	v_lshlrev_b64 v[11:12], 2, v[2:3]
	v_add_co_u32 v11, vcc_lo, s14, v11
	s_delay_alu instid0(VALU_DEP_2) | instskip(SKIP_3) | instid1(VALU_DEP_1)
	v_add_co_ci_u32_e32 v12, vcc_lo, s15, v12, vcc_lo
	global_load_b32 v3, v[11:12], off
	s_waitcnt vmcnt(0)
	v_subrev_nc_u32_e32 v3, s5, v3
	v_mul_lo_u32 v11, 0x4f, v3
	s_delay_alu instid0(VALU_DEP_1)
	v_and_b32_e32 v11, 0xfff, v11
	s_branch .LBB8_13
.LBB8_11:                               ;   in Loop: Header=BB8_13 Depth=3
	s_or_b32 exec_lo, exec_lo, s26
	s_delay_alu instid0(SALU_CYCLE_1)
	s_and_not1_b32 s2, s21, exec_lo
	s_and_b32 s21, s24, exec_lo
	s_and_not1_b32 s20, s20, exec_lo
	s_and_b32 s22, s25, exec_lo
	s_or_b32 s21, s2, s21
	s_or_b32 s20, s20, s22
                                        ; implicit-def: $sgpr22
.LBB8_12:                               ;   in Loop: Header=BB8_13 Depth=3
	s_or_b32 exec_lo, exec_lo, s23
	s_xor_b32 s2, s20, -1
	s_delay_alu instid0(SALU_CYCLE_1) | instskip(NEXT) | instid1(SALU_CYCLE_1)
	s_and_b32 s2, exec_lo, s2
	s_or_b32 s19, s2, s19
	s_and_not1_b32 s2, s22, exec_lo
	s_and_b32 s23, s21, exec_lo
	s_and_not1_b32 s18, s18, exec_lo
	s_or_b32 s22, s2, s23
	s_or_b32 s18, s18, s23
	s_and_not1_b32 exec_lo, exec_lo, s19
	s_cbranch_execz .LBB8_9
.LBB8_13:                               ;   Parent Loop BB8_7 Depth=1
                                        ;     Parent Loop BB8_10 Depth=2
                                        ; =>    This Inner Loop Header: Depth=3
	s_delay_alu instid0(VALU_DEP_1)
	v_lshl_add_u32 v12, v11, 2, 0
	s_and_not1_b32 s21, s21, exec_lo
	s_and_not1_b32 s20, s20, exec_lo
	s_mov_b32 s23, exec_lo
	ds_load_b32 v13, v12
	s_waitcnt lgkmcnt(0)
	v_cmpx_ne_u32_e64 v13, v3
	s_cbranch_execz .LBB8_12
; %bb.14:                               ;   in Loop: Header=BB8_13 Depth=3
	s_mov_b32 s2, exec_lo
                                        ; implicit-def: $sgpr24
                                        ; implicit-def: $sgpr25
	v_cmpx_ne_u32_e32 -1, v13
	s_xor_b32 s2, exec_lo, s2
; %bb.15:                               ;   in Loop: Header=BB8_13 Depth=3
	v_add_nc_u32_e32 v11, 1, v11
	s_mov_b32 s25, -1
	s_and_b32 s24, s22, exec_lo
                                        ; implicit-def: $vgpr12
	s_delay_alu instid0(VALU_DEP_1)
	v_and_b32_e32 v11, 0xfff, v11
; %bb.16:                               ;   in Loop: Header=BB8_13 Depth=3
	s_and_not1_saveexec_b32 s26, s2
	s_cbranch_execz .LBB8_11
; %bb.17:                               ;   in Loop: Header=BB8_13 Depth=3
	ds_cmpstore_rtn_b32 v12, v12, v3, v9
	s_and_not1_b32 s25, s25, exec_lo
	s_and_not1_b32 s24, s24, exec_lo
	s_waitcnt lgkmcnt(0)
	v_cmp_eq_u32_e32 vcc_lo, -1, v12
	v_cmp_ne_u32_e64 s2, -1, v12
	s_or_b32 s22, vcc_lo, s22
	s_delay_alu instid0(VALU_DEP_1)
	s_and_b32 s2, s2, exec_lo
	s_and_b32 s22, s22, exec_lo
	s_or_b32 s25, s25, s2
	s_or_b32 s24, s24, s22
	s_branch .LBB8_11
.LBB8_18:
	s_or_b32 exec_lo, exec_lo, s13
.LBB8_19:
	s_delay_alu instid0(SALU_CYCLE_1)
	s_or_b32 exec_lo, exec_lo, s3
.LBB8_20:
	s_load_b32 s2, s[0:1], 0x54
	s_waitcnt lgkmcnt(0)
	s_bfe_u32 s2, s2, 0x10008
	s_delay_alu instid0(SALU_CYCLE_1)
	s_cmp_eq_u32 s2, 0
	s_cbranch_scc1 .LBB8_34
; %bb.21:
	s_load_b64 s[2:3], s[0:1], 0x30
	s_ashr_i32 s13, s12, 31
	v_subrev_nc_u32_e32 v1, s6, v5
	s_lshl_b64 s[4:5], s[12:13], 2
	s_waitcnt lgkmcnt(0)
	s_add_u32 s2, s2, s4
	s_addc_u32 s3, s3, s5
	s_load_b64 s[2:3], s[2:3], 0x0
	s_waitcnt lgkmcnt(0)
	v_add_nc_u32_e32 v1, s2, v1
	s_sub_i32 s7, s3, s6
	s_mov_b32 s3, exec_lo
	s_delay_alu instid0(VALU_DEP_1)
	v_cmpx_gt_i32_e64 s7, v1
	s_cbranch_execz .LBB8_33
; %bb.22:
	s_load_b64 s[4:5], s[0:1], 0x38
	v_mov_b32_e32 v3, -1
	s_mov_b32 s8, 0
	s_branch .LBB8_24
.LBB8_23:                               ;   in Loop: Header=BB8_24 Depth=1
	s_or_b32 exec_lo, exec_lo, s10
	v_add_nc_u32_e32 v1, 32, v1
	v_cndmask_b32_e64 v2, 0, 1, s9
	s_delay_alu instid0(VALU_DEP_2) | instskip(NEXT) | instid1(VALU_DEP_2)
	v_cmp_le_i32_e32 vcc_lo, s7, v1
	v_add_nc_u32_e32 v7, v7, v2
	s_or_b32 s8, vcc_lo, s8
	s_delay_alu instid0(SALU_CYCLE_1)
	s_and_not1_b32 exec_lo, exec_lo, s8
	s_cbranch_execz .LBB8_32
.LBB8_24:                               ; =>This Loop Header: Depth=1
                                        ;     Child Loop BB8_27 Depth 2
	v_ashrrev_i32_e32 v2, 31, v1
	s_mov_b32 s10, 0
                                        ; implicit-def: $sgpr9
                                        ; implicit-def: $sgpr11
                                        ; implicit-def: $sgpr13
                                        ; implicit-def: $sgpr14
	s_delay_alu instid0(VALU_DEP_1) | instskip(SKIP_1) | instid1(VALU_DEP_1)
	v_lshlrev_b64 v[8:9], 2, v[1:2]
	s_waitcnt lgkmcnt(0)
	v_add_co_u32 v8, vcc_lo, s4, v8
	s_delay_alu instid0(VALU_DEP_2) | instskip(SKIP_3) | instid1(VALU_DEP_1)
	v_add_co_ci_u32_e32 v9, vcc_lo, s5, v9, vcc_lo
	global_load_b32 v2, v[8:9], off
	s_waitcnt vmcnt(0)
	v_subrev_nc_u32_e32 v2, s6, v2
	v_mul_lo_u32 v8, 0x4f, v2
	s_delay_alu instid0(VALU_DEP_1)
	v_and_b32_e32 v8, 0xfff, v8
	s_branch .LBB8_27
.LBB8_25:                               ;   in Loop: Header=BB8_27 Depth=2
	s_or_b32 exec_lo, exec_lo, s18
	s_delay_alu instid0(SALU_CYCLE_1)
	s_and_not1_b32 s2, s13, exec_lo
	s_and_b32 s13, s16, exec_lo
	s_and_not1_b32 s11, s11, exec_lo
	s_and_b32 s14, s17, exec_lo
	s_or_b32 s13, s2, s13
	s_or_b32 s11, s11, s14
                                        ; implicit-def: $sgpr14
.LBB8_26:                               ;   in Loop: Header=BB8_27 Depth=2
	s_or_b32 exec_lo, exec_lo, s15
	s_xor_b32 s2, s11, -1
	s_delay_alu instid0(SALU_CYCLE_1) | instskip(NEXT) | instid1(SALU_CYCLE_1)
	s_and_b32 s2, exec_lo, s2
	s_or_b32 s10, s2, s10
	s_and_not1_b32 s2, s14, exec_lo
	s_and_b32 s15, s13, exec_lo
	s_and_not1_b32 s9, s9, exec_lo
	s_or_b32 s14, s2, s15
	s_or_b32 s9, s9, s15
	s_and_not1_b32 exec_lo, exec_lo, s10
	s_cbranch_execz .LBB8_23
.LBB8_27:                               ;   Parent Loop BB8_24 Depth=1
                                        ; =>  This Inner Loop Header: Depth=2
	s_delay_alu instid0(VALU_DEP_1)
	v_lshl_add_u32 v9, v8, 2, 0
	s_and_not1_b32 s13, s13, exec_lo
	s_and_not1_b32 s11, s11, exec_lo
	s_mov_b32 s15, exec_lo
	ds_load_b32 v10, v9
	s_waitcnt lgkmcnt(0)
	v_cmpx_ne_u32_e64 v10, v2
	s_cbranch_execz .LBB8_26
; %bb.28:                               ;   in Loop: Header=BB8_27 Depth=2
	s_mov_b32 s2, exec_lo
                                        ; implicit-def: $sgpr16
                                        ; implicit-def: $sgpr17
	v_cmpx_ne_u32_e32 -1, v10
	s_xor_b32 s2, exec_lo, s2
; %bb.29:                               ;   in Loop: Header=BB8_27 Depth=2
	v_add_nc_u32_e32 v8, 1, v8
	s_mov_b32 s17, -1
	s_and_b32 s16, s14, exec_lo
                                        ; implicit-def: $vgpr9
	s_delay_alu instid0(VALU_DEP_1)
	v_and_b32_e32 v8, 0xfff, v8
; %bb.30:                               ;   in Loop: Header=BB8_27 Depth=2
	s_and_not1_saveexec_b32 s18, s2
	s_cbranch_execz .LBB8_25
; %bb.31:                               ;   in Loop: Header=BB8_27 Depth=2
	ds_cmpstore_rtn_b32 v9, v9, v2, v3
	s_and_not1_b32 s17, s17, exec_lo
	s_and_not1_b32 s16, s16, exec_lo
	s_waitcnt lgkmcnt(0)
	v_cmp_eq_u32_e32 vcc_lo, -1, v9
	v_cmp_ne_u32_e64 s2, -1, v9
	s_or_b32 s14, vcc_lo, s14
	s_delay_alu instid0(VALU_DEP_1)
	s_and_b32 s2, s2, exec_lo
	s_and_b32 s14, s14, exec_lo
	s_or_b32 s17, s17, s2
	s_or_b32 s16, s16, s14
	s_branch .LBB8_25
.LBB8_32:
	s_or_b32 exec_lo, exec_lo, s8
.LBB8_33:
	s_delay_alu instid0(SALU_CYCLE_1)
	s_or_b32 exec_lo, exec_lo, s3
.LBB8_34:
	v_mbcnt_lo_u32_b32 v1, -1, 0
	s_mov_b32 s2, exec_lo
	s_barrier
	buffer_gl0_inv
	v_xor_b32_e32 v2, 8, v1
	v_xor_b32_e32 v3, 4, v1
	;; [unrolled: 1-line block ×3, first 2 shown]
	s_delay_alu instid0(VALU_DEP_3) | instskip(SKIP_1) | instid1(VALU_DEP_4)
	v_cmp_gt_i32_e32 vcc_lo, 32, v2
	v_cndmask_b32_e32 v2, v1, v2, vcc_lo
	v_cmp_gt_i32_e32 vcc_lo, 32, v3
	v_cndmask_b32_e32 v3, v1, v3, vcc_lo
	s_delay_alu instid0(VALU_DEP_1) | instskip(NEXT) | instid1(VALU_DEP_4)
	v_lshlrev_b32_e32 v3, 2, v3
	v_lshlrev_b32_e32 v2, 2, v2
	ds_bpermute_b32 v8, v2, v7
	s_waitcnt lgkmcnt(0)
	v_add_nc_u32_e32 v8, v8, v7
	v_xor_b32_e32 v7, 2, v1
	ds_bpermute_b32 v9, v3, v8
	v_cmp_gt_i32_e32 vcc_lo, 32, v7
	v_cndmask_b32_e32 v7, v1, v7, vcc_lo
	v_cmp_gt_i32_e32 vcc_lo, 32, v10
	s_delay_alu instid0(VALU_DEP_2)
	v_dual_cndmask_b32 v10, v1, v10 :: v_dual_lshlrev_b32 v7, 2, v7
	s_waitcnt lgkmcnt(0)
	v_add_nc_u32_e32 v8, v9, v8
	ds_bpermute_b32 v9, v7, v8
	s_waitcnt lgkmcnt(0)
	v_add_nc_u32_e32 v9, v9, v8
	v_lshlrev_b32_e32 v8, 2, v10
	ds_bpermute_b32 v10, v8, v9
	v_cmpx_eq_u32_e32 15, v6
	s_cbranch_execz .LBB8_36
; %bb.35:
	v_lshl_add_u32 v5, v5, 2, 0
	s_waitcnt lgkmcnt(0)
	v_add_nc_u32_e32 v6, v10, v9
	ds_store_b32 v5, v6
.LBB8_36:
	s_or_b32 exec_lo, exec_lo, s2
	v_mov_b32_e32 v5, 0
	s_mov_b32 s2, exec_lo
	s_waitcnt lgkmcnt(0)
	s_barrier
	buffer_gl0_inv
	v_cmpx_gt_u32_e32 32, v0
	s_cbranch_execz .LBB8_38
; %bb.37:
	ds_load_b32 v5, v4
.LBB8_38:
	s_or_b32 exec_lo, exec_lo, s2
	v_xor_b32_e32 v4, 16, v1
	s_mov_b32 s2, exec_lo
	s_delay_alu instid0(VALU_DEP_1) | instskip(SKIP_1) | instid1(VALU_DEP_1)
	v_cmp_gt_i32_e32 vcc_lo, 32, v4
	v_cndmask_b32_e32 v1, v1, v4, vcc_lo
	v_lshlrev_b32_e32 v1, 2, v1
	s_waitcnt lgkmcnt(0)
	ds_bpermute_b32 v1, v1, v5
	s_waitcnt lgkmcnt(0)
	v_add_nc_u32_e32 v1, v1, v5
	ds_bpermute_b32 v2, v2, v1
	s_waitcnt lgkmcnt(0)
	v_add_nc_u32_e32 v1, v2, v1
	;; [unrolled: 3-line block ×4, first 2 shown]
	ds_bpermute_b32 v2, v8, v1
	v_cmpx_eq_u32_e32 31, v0
	s_cbranch_execz .LBB8_40
; %bb.39:
	s_load_b64 s[0:1], s[0:1], 0x40
	s_ashr_i32 s13, s12, 31
	s_waitcnt lgkmcnt(0)
	v_dual_mov_b32 v0, 0 :: v_dual_add_nc_u32 v1, v2, v1
	s_lshl_b64 s[2:3], s[12:13], 2
	s_delay_alu instid0(SALU_CYCLE_1)
	s_add_u32 s0, s0, s2
	s_addc_u32 s1, s1, s3
	global_store_b32 v0, v1, s[0:1]
.LBB8_40:
	s_nop 0
	s_sendmsg sendmsg(MSG_DEALLOC_VGPRS)
	s_endpgm
	.section	.rodata,"a",@progbits
	.p2align	6, 0x0
	.amdhsa_kernel _ZN9rocsparseL25csrgemm_nnz_block_per_rowILj512ELj16ELj4096ELj79EiiEEvPKT4_S3_PKT3_S3_S6_S3_S6_S3_PS4_21rocsparse_index_base_S8_S8_bb
		.amdhsa_group_segment_fixed_size 0
		.amdhsa_private_segment_fixed_size 0
		.amdhsa_kernarg_size 88
		.amdhsa_user_sgpr_count 15
		.amdhsa_user_sgpr_dispatch_ptr 0
		.amdhsa_user_sgpr_queue_ptr 0
		.amdhsa_user_sgpr_kernarg_segment_ptr 1
		.amdhsa_user_sgpr_dispatch_id 0
		.amdhsa_user_sgpr_private_segment_size 0
		.amdhsa_wavefront_size32 1
		.amdhsa_uses_dynamic_stack 0
		.amdhsa_enable_private_segment 0
		.amdhsa_system_sgpr_workgroup_id_x 1
		.amdhsa_system_sgpr_workgroup_id_y 0
		.amdhsa_system_sgpr_workgroup_id_z 0
		.amdhsa_system_sgpr_workgroup_info 0
		.amdhsa_system_vgpr_workitem_id 0
		.amdhsa_next_free_vgpr 14
		.amdhsa_next_free_sgpr 27
		.amdhsa_reserve_vcc 1
		.amdhsa_float_round_mode_32 0
		.amdhsa_float_round_mode_16_64 0
		.amdhsa_float_denorm_mode_32 3
		.amdhsa_float_denorm_mode_16_64 3
		.amdhsa_dx10_clamp 1
		.amdhsa_ieee_mode 1
		.amdhsa_fp16_overflow 0
		.amdhsa_workgroup_processor_mode 1
		.amdhsa_memory_ordered 1
		.amdhsa_forward_progress 0
		.amdhsa_shared_vgpr_count 0
		.amdhsa_exception_fp_ieee_invalid_op 0
		.amdhsa_exception_fp_denorm_src 0
		.amdhsa_exception_fp_ieee_div_zero 0
		.amdhsa_exception_fp_ieee_overflow 0
		.amdhsa_exception_fp_ieee_underflow 0
		.amdhsa_exception_fp_ieee_inexact 0
		.amdhsa_exception_int_div_zero 0
	.end_amdhsa_kernel
	.section	.text._ZN9rocsparseL25csrgemm_nnz_block_per_rowILj512ELj16ELj4096ELj79EiiEEvPKT4_S3_PKT3_S3_S6_S3_S6_S3_PS4_21rocsparse_index_base_S8_S8_bb,"axG",@progbits,_ZN9rocsparseL25csrgemm_nnz_block_per_rowILj512ELj16ELj4096ELj79EiiEEvPKT4_S3_PKT3_S3_S6_S3_S6_S3_PS4_21rocsparse_index_base_S8_S8_bb,comdat
.Lfunc_end8:
	.size	_ZN9rocsparseL25csrgemm_nnz_block_per_rowILj512ELj16ELj4096ELj79EiiEEvPKT4_S3_PKT3_S3_S6_S3_S6_S3_PS4_21rocsparse_index_base_S8_S8_bb, .Lfunc_end8-_ZN9rocsparseL25csrgemm_nnz_block_per_rowILj512ELj16ELj4096ELj79EiiEEvPKT4_S3_PKT3_S3_S6_S3_S6_S3_PS4_21rocsparse_index_base_S8_S8_bb
                                        ; -- End function
	.section	.AMDGPU.csdata,"",@progbits
; Kernel info:
; codeLenInByte = 1740
; NumSgprs: 29
; NumVgprs: 14
; ScratchSize: 0
; MemoryBound: 0
; FloatMode: 240
; IeeeMode: 1
; LDSByteSize: 0 bytes/workgroup (compile time only)
; SGPRBlocks: 3
; VGPRBlocks: 1
; NumSGPRsForWavesPerEU: 29
; NumVGPRsForWavesPerEU: 14
; Occupancy: 16
; WaveLimiterHint : 1
; COMPUTE_PGM_RSRC2:SCRATCH_EN: 0
; COMPUTE_PGM_RSRC2:USER_SGPR: 15
; COMPUTE_PGM_RSRC2:TRAP_HANDLER: 0
; COMPUTE_PGM_RSRC2:TGID_X_EN: 1
; COMPUTE_PGM_RSRC2:TGID_Y_EN: 0
; COMPUTE_PGM_RSRC2:TGID_Z_EN: 0
; COMPUTE_PGM_RSRC2:TIDIG_COMP_CNT: 0
	.section	.text._ZN9rocsparseL25csrgemm_nnz_block_per_rowILj1024ELj32ELj8192ELj79EiiEEvPKT4_S3_PKT3_S3_S6_S3_S6_S3_PS4_21rocsparse_index_base_S8_S8_bb,"axG",@progbits,_ZN9rocsparseL25csrgemm_nnz_block_per_rowILj1024ELj32ELj8192ELj79EiiEEvPKT4_S3_PKT3_S3_S6_S3_S6_S3_PS4_21rocsparse_index_base_S8_S8_bb,comdat
	.globl	_ZN9rocsparseL25csrgemm_nnz_block_per_rowILj1024ELj32ELj8192ELj79EiiEEvPKT4_S3_PKT3_S3_S6_S3_S6_S3_PS4_21rocsparse_index_base_S8_S8_bb ; -- Begin function _ZN9rocsparseL25csrgemm_nnz_block_per_rowILj1024ELj32ELj8192ELj79EiiEEvPKT4_S3_PKT3_S3_S6_S3_S6_S3_PS4_21rocsparse_index_base_S8_S8_bb
	.p2align	8
	.type	_ZN9rocsparseL25csrgemm_nnz_block_per_rowILj1024ELj32ELj8192ELj79EiiEEvPKT4_S3_PKT3_S3_S6_S3_S6_S3_PS4_21rocsparse_index_base_S8_S8_bb,@function
_ZN9rocsparseL25csrgemm_nnz_block_per_rowILj1024ELj32ELj8192ELj79EiiEEvPKT4_S3_PKT3_S3_S6_S3_S6_S3_PS4_21rocsparse_index_base_S8_S8_bb: ; @_ZN9rocsparseL25csrgemm_nnz_block_per_rowILj1024ELj32ELj8192ELj79EiiEEvPKT4_S3_PKT3_S3_S6_S3_S6_S3_PS4_21rocsparse_index_base_S8_S8_bb
; %bb.0:
	s_clause 0x1
	s_load_b128 s[8:11], s[0:1], 0x0
	s_load_b128 s[4:7], s[0:1], 0x48
	s_mov_b32 s3, 0
	v_lshl_add_u32 v4, v0, 2, 0
	v_dual_mov_b32 v1, -1 :: v_dual_and_b32 v6, 31, v0
	v_lshrrev_b32_e32 v5, 5, v0
	v_mov_b32_e32 v7, 0
	s_waitcnt lgkmcnt(0)
	s_load_b32 s2, s[8:9], 0x0
	s_waitcnt lgkmcnt(0)
	s_add_i32 s2, s2, s15
	s_delay_alu instid0(SALU_CYCLE_1) | instskip(NEXT) | instid1(SALU_CYCLE_1)
	s_lshl_b64 s[2:3], s[2:3], 2
	s_add_u32 s2, s10, s2
	s_addc_u32 s3, s11, s3
	s_bitcmp0_b32 s7, 0
	s_load_b32 s12, s[2:3], 0x0
	ds_store_2addr_stride64_b32 v4, v1, v1 offset1:16
	ds_store_2addr_stride64_b32 v4, v1, v1 offset0:32 offset1:48
	ds_store_2addr_stride64_b32 v4, v1, v1 offset0:64 offset1:80
	;; [unrolled: 1-line block ×3, first 2 shown]
	s_waitcnt lgkmcnt(0)
	s_barrier
	buffer_gl0_inv
	s_cbranch_scc1 .LBB9_18
; %bb.1:
	s_load_b64 s[2:3], s[0:1], 0x10
	s_ashr_i32 s13, s12, 31
	v_subrev_nc_u32_e32 v1, s4, v5
	s_lshl_b64 s[8:9], s[12:13], 2
	v_mov_b32_e32 v7, 0
	s_waitcnt lgkmcnt(0)
	s_add_u32 s2, s2, s8
	s_addc_u32 s3, s3, s9
	s_load_b64 s[2:3], s[2:3], 0x0
	s_waitcnt lgkmcnt(0)
	v_add_nc_u32_e32 v1, s2, v1
	s_sub_i32 s7, s3, s4
	s_mov_b32 s3, exec_lo
	s_delay_alu instid0(VALU_DEP_1)
	v_cmpx_gt_i32_e64 s7, v1
	s_cbranch_execz .LBB9_17
; %bb.2:
	s_clause 0x1
	s_load_b128 s[8:11], s[0:1], 0x18
	s_load_b64 s[14:15], s[0:1], 0x28
	v_subrev_nc_u32_e32 v8, s5, v6
	v_mov_b32_e32 v7, 0
	v_mov_b32_e32 v9, -1
	s_mov_b32 s13, 0
	s_branch .LBB9_5
.LBB9_3:                                ;   in Loop: Header=BB9_5 Depth=1
	s_or_b32 exec_lo, exec_lo, s17
.LBB9_4:                                ;   in Loop: Header=BB9_5 Depth=1
	s_delay_alu instid0(SALU_CYCLE_1) | instskip(SKIP_1) | instid1(VALU_DEP_1)
	s_or_b32 exec_lo, exec_lo, s16
	v_add_nc_u32_e32 v1, 32, v1
	v_cmp_le_i32_e32 vcc_lo, s7, v1
	s_or_b32 s13, vcc_lo, s13
	s_delay_alu instid0(SALU_CYCLE_1)
	s_and_not1_b32 exec_lo, exec_lo, s13
	s_cbranch_execz .LBB9_16
.LBB9_5:                                ; =>This Loop Header: Depth=1
                                        ;     Child Loop BB9_8 Depth 2
                                        ;       Child Loop BB9_11 Depth 3
	v_ashrrev_i32_e32 v2, 31, v1
	s_mov_b32 s16, exec_lo
	s_delay_alu instid0(VALU_DEP_1) | instskip(SKIP_1) | instid1(VALU_DEP_1)
	v_lshlrev_b64 v[2:3], 2, v[1:2]
	s_waitcnt lgkmcnt(0)
	v_add_co_u32 v2, vcc_lo, s8, v2
	s_delay_alu instid0(VALU_DEP_2) | instskip(SKIP_3) | instid1(VALU_DEP_1)
	v_add_co_ci_u32_e32 v3, vcc_lo, s9, v3, vcc_lo
	global_load_b32 v2, v[2:3], off
	s_waitcnt vmcnt(0)
	v_subrev_nc_u32_e32 v2, s4, v2
	v_ashrrev_i32_e32 v3, 31, v2
	s_delay_alu instid0(VALU_DEP_1) | instskip(NEXT) | instid1(VALU_DEP_1)
	v_lshlrev_b64 v[2:3], 2, v[2:3]
	v_add_co_u32 v2, vcc_lo, s10, v2
	s_delay_alu instid0(VALU_DEP_2) | instskip(SKIP_4) | instid1(VALU_DEP_1)
	v_add_co_ci_u32_e32 v3, vcc_lo, s11, v3, vcc_lo
	global_load_b64 v[2:3], v[2:3], off
	s_waitcnt vmcnt(0)
	v_subrev_nc_u32_e32 v10, s5, v3
	v_add_nc_u32_e32 v2, v8, v2
	v_cmpx_lt_i32_e64 v2, v10
	s_cbranch_execz .LBB9_4
; %bb.6:                                ;   in Loop: Header=BB9_5 Depth=1
	s_mov_b32 s17, 0
	s_branch .LBB9_8
.LBB9_7:                                ;   in Loop: Header=BB9_8 Depth=2
	s_or_b32 exec_lo, exec_lo, s19
	v_add_nc_u32_e32 v2, 32, v2
	v_cndmask_b32_e64 v3, 0, 1, s18
	s_delay_alu instid0(VALU_DEP_2) | instskip(NEXT) | instid1(VALU_DEP_2)
	v_cmp_ge_i32_e32 vcc_lo, v2, v10
	v_add_nc_u32_e32 v7, v7, v3
	s_or_b32 s17, vcc_lo, s17
	s_delay_alu instid0(SALU_CYCLE_1)
	s_and_not1_b32 exec_lo, exec_lo, s17
	s_cbranch_execz .LBB9_3
.LBB9_8:                                ;   Parent Loop BB9_5 Depth=1
                                        ; =>  This Loop Header: Depth=2
                                        ;       Child Loop BB9_11 Depth 3
	v_ashrrev_i32_e32 v3, 31, v2
	s_mov_b32 s19, 0
                                        ; implicit-def: $sgpr18
                                        ; implicit-def: $sgpr20
                                        ; implicit-def: $sgpr21
                                        ; implicit-def: $sgpr22
	s_delay_alu instid0(VALU_DEP_1) | instskip(NEXT) | instid1(VALU_DEP_1)
	v_lshlrev_b64 v[11:12], 2, v[2:3]
	v_add_co_u32 v11, vcc_lo, s14, v11
	s_delay_alu instid0(VALU_DEP_2) | instskip(SKIP_3) | instid1(VALU_DEP_1)
	v_add_co_ci_u32_e32 v12, vcc_lo, s15, v12, vcc_lo
	global_load_b32 v3, v[11:12], off
	s_waitcnt vmcnt(0)
	v_subrev_nc_u32_e32 v3, s5, v3
	v_mul_lo_u32 v11, 0x4f, v3
	s_delay_alu instid0(VALU_DEP_1)
	v_and_b32_e32 v11, 0x1fff, v11
	s_branch .LBB9_11
.LBB9_9:                                ;   in Loop: Header=BB9_11 Depth=3
	s_or_b32 exec_lo, exec_lo, s26
	s_delay_alu instid0(SALU_CYCLE_1)
	s_and_not1_b32 s2, s21, exec_lo
	s_and_b32 s21, s24, exec_lo
	s_and_not1_b32 s20, s20, exec_lo
	s_and_b32 s22, s25, exec_lo
	s_or_b32 s21, s2, s21
	s_or_b32 s20, s20, s22
                                        ; implicit-def: $sgpr22
.LBB9_10:                               ;   in Loop: Header=BB9_11 Depth=3
	s_or_b32 exec_lo, exec_lo, s23
	s_xor_b32 s2, s20, -1
	s_delay_alu instid0(SALU_CYCLE_1) | instskip(NEXT) | instid1(SALU_CYCLE_1)
	s_and_b32 s2, exec_lo, s2
	s_or_b32 s19, s2, s19
	s_and_not1_b32 s2, s22, exec_lo
	s_and_b32 s23, s21, exec_lo
	s_and_not1_b32 s18, s18, exec_lo
	s_or_b32 s22, s2, s23
	s_or_b32 s18, s18, s23
	s_and_not1_b32 exec_lo, exec_lo, s19
	s_cbranch_execz .LBB9_7
.LBB9_11:                               ;   Parent Loop BB9_5 Depth=1
                                        ;     Parent Loop BB9_8 Depth=2
                                        ; =>    This Inner Loop Header: Depth=3
	s_delay_alu instid0(VALU_DEP_1)
	v_lshl_add_u32 v12, v11, 2, 0
	s_and_not1_b32 s21, s21, exec_lo
	s_and_not1_b32 s20, s20, exec_lo
	s_mov_b32 s23, exec_lo
	ds_load_b32 v13, v12
	s_waitcnt lgkmcnt(0)
	v_cmpx_ne_u32_e64 v13, v3
	s_cbranch_execz .LBB9_10
; %bb.12:                               ;   in Loop: Header=BB9_11 Depth=3
	s_mov_b32 s2, exec_lo
                                        ; implicit-def: $sgpr24
                                        ; implicit-def: $sgpr25
	v_cmpx_ne_u32_e32 -1, v13
	s_xor_b32 s2, exec_lo, s2
; %bb.13:                               ;   in Loop: Header=BB9_11 Depth=3
	v_add_nc_u32_e32 v11, 1, v11
	s_mov_b32 s25, -1
	s_and_b32 s24, s22, exec_lo
                                        ; implicit-def: $vgpr12
	s_delay_alu instid0(VALU_DEP_1)
	v_and_b32_e32 v11, 0x1fff, v11
; %bb.14:                               ;   in Loop: Header=BB9_11 Depth=3
	s_and_not1_saveexec_b32 s26, s2
	s_cbranch_execz .LBB9_9
; %bb.15:                               ;   in Loop: Header=BB9_11 Depth=3
	ds_cmpstore_rtn_b32 v12, v12, v3, v9
	s_and_not1_b32 s25, s25, exec_lo
	s_and_not1_b32 s24, s24, exec_lo
	s_waitcnt lgkmcnt(0)
	v_cmp_eq_u32_e32 vcc_lo, -1, v12
	v_cmp_ne_u32_e64 s2, -1, v12
	s_or_b32 s22, vcc_lo, s22
	s_delay_alu instid0(VALU_DEP_1)
	s_and_b32 s2, s2, exec_lo
	s_and_b32 s22, s22, exec_lo
	s_or_b32 s25, s25, s2
	s_or_b32 s24, s24, s22
	s_branch .LBB9_9
.LBB9_16:
	s_or_b32 exec_lo, exec_lo, s13
.LBB9_17:
	s_delay_alu instid0(SALU_CYCLE_1)
	s_or_b32 exec_lo, exec_lo, s3
.LBB9_18:
	s_load_b32 s2, s[0:1], 0x54
	s_waitcnt lgkmcnt(0)
	s_bfe_u32 s2, s2, 0x10008
	s_delay_alu instid0(SALU_CYCLE_1)
	s_cmp_eq_u32 s2, 0
	s_cbranch_scc1 .LBB9_32
; %bb.19:
	s_load_b64 s[2:3], s[0:1], 0x30
	s_ashr_i32 s13, s12, 31
	v_subrev_nc_u32_e32 v1, s6, v5
	s_lshl_b64 s[4:5], s[12:13], 2
	s_waitcnt lgkmcnt(0)
	s_add_u32 s2, s2, s4
	s_addc_u32 s3, s3, s5
	s_load_b64 s[2:3], s[2:3], 0x0
	s_waitcnt lgkmcnt(0)
	v_add_nc_u32_e32 v1, s2, v1
	s_sub_i32 s7, s3, s6
	s_mov_b32 s3, exec_lo
	s_delay_alu instid0(VALU_DEP_1)
	v_cmpx_gt_i32_e64 s7, v1
	s_cbranch_execz .LBB9_31
; %bb.20:
	s_load_b64 s[4:5], s[0:1], 0x38
	v_mov_b32_e32 v3, -1
	s_mov_b32 s8, 0
	s_branch .LBB9_22
.LBB9_21:                               ;   in Loop: Header=BB9_22 Depth=1
	s_or_b32 exec_lo, exec_lo, s10
	v_add_nc_u32_e32 v1, 32, v1
	v_cndmask_b32_e64 v2, 0, 1, s9
	s_delay_alu instid0(VALU_DEP_2) | instskip(NEXT) | instid1(VALU_DEP_2)
	v_cmp_le_i32_e32 vcc_lo, s7, v1
	v_add_nc_u32_e32 v7, v7, v2
	s_or_b32 s8, vcc_lo, s8
	s_delay_alu instid0(SALU_CYCLE_1)
	s_and_not1_b32 exec_lo, exec_lo, s8
	s_cbranch_execz .LBB9_30
.LBB9_22:                               ; =>This Loop Header: Depth=1
                                        ;     Child Loop BB9_25 Depth 2
	v_ashrrev_i32_e32 v2, 31, v1
	s_mov_b32 s10, 0
                                        ; implicit-def: $sgpr9
                                        ; implicit-def: $sgpr11
                                        ; implicit-def: $sgpr13
                                        ; implicit-def: $sgpr14
	s_delay_alu instid0(VALU_DEP_1) | instskip(SKIP_1) | instid1(VALU_DEP_1)
	v_lshlrev_b64 v[8:9], 2, v[1:2]
	s_waitcnt lgkmcnt(0)
	v_add_co_u32 v8, vcc_lo, s4, v8
	s_delay_alu instid0(VALU_DEP_2) | instskip(SKIP_3) | instid1(VALU_DEP_1)
	v_add_co_ci_u32_e32 v9, vcc_lo, s5, v9, vcc_lo
	global_load_b32 v2, v[8:9], off
	s_waitcnt vmcnt(0)
	v_subrev_nc_u32_e32 v2, s6, v2
	v_mul_lo_u32 v8, 0x4f, v2
	s_delay_alu instid0(VALU_DEP_1)
	v_and_b32_e32 v8, 0x1fff, v8
	s_branch .LBB9_25
.LBB9_23:                               ;   in Loop: Header=BB9_25 Depth=2
	s_or_b32 exec_lo, exec_lo, s18
	s_delay_alu instid0(SALU_CYCLE_1)
	s_and_not1_b32 s2, s13, exec_lo
	s_and_b32 s13, s16, exec_lo
	s_and_not1_b32 s11, s11, exec_lo
	s_and_b32 s14, s17, exec_lo
	s_or_b32 s13, s2, s13
	s_or_b32 s11, s11, s14
                                        ; implicit-def: $sgpr14
.LBB9_24:                               ;   in Loop: Header=BB9_25 Depth=2
	s_or_b32 exec_lo, exec_lo, s15
	s_xor_b32 s2, s11, -1
	s_delay_alu instid0(SALU_CYCLE_1) | instskip(NEXT) | instid1(SALU_CYCLE_1)
	s_and_b32 s2, exec_lo, s2
	s_or_b32 s10, s2, s10
	s_and_not1_b32 s2, s14, exec_lo
	s_and_b32 s15, s13, exec_lo
	s_and_not1_b32 s9, s9, exec_lo
	s_or_b32 s14, s2, s15
	s_or_b32 s9, s9, s15
	s_and_not1_b32 exec_lo, exec_lo, s10
	s_cbranch_execz .LBB9_21
.LBB9_25:                               ;   Parent Loop BB9_22 Depth=1
                                        ; =>  This Inner Loop Header: Depth=2
	s_delay_alu instid0(VALU_DEP_1)
	v_lshl_add_u32 v9, v8, 2, 0
	s_and_not1_b32 s13, s13, exec_lo
	s_and_not1_b32 s11, s11, exec_lo
	s_mov_b32 s15, exec_lo
	ds_load_b32 v10, v9
	s_waitcnt lgkmcnt(0)
	v_cmpx_ne_u32_e64 v10, v2
	s_cbranch_execz .LBB9_24
; %bb.26:                               ;   in Loop: Header=BB9_25 Depth=2
	s_mov_b32 s2, exec_lo
                                        ; implicit-def: $sgpr16
                                        ; implicit-def: $sgpr17
	v_cmpx_ne_u32_e32 -1, v10
	s_xor_b32 s2, exec_lo, s2
; %bb.27:                               ;   in Loop: Header=BB9_25 Depth=2
	v_add_nc_u32_e32 v8, 1, v8
	s_mov_b32 s17, -1
	s_and_b32 s16, s14, exec_lo
                                        ; implicit-def: $vgpr9
	s_delay_alu instid0(VALU_DEP_1)
	v_and_b32_e32 v8, 0x1fff, v8
; %bb.28:                               ;   in Loop: Header=BB9_25 Depth=2
	s_and_not1_saveexec_b32 s18, s2
	s_cbranch_execz .LBB9_23
; %bb.29:                               ;   in Loop: Header=BB9_25 Depth=2
	ds_cmpstore_rtn_b32 v9, v9, v2, v3
	s_and_not1_b32 s17, s17, exec_lo
	s_and_not1_b32 s16, s16, exec_lo
	s_waitcnt lgkmcnt(0)
	v_cmp_eq_u32_e32 vcc_lo, -1, v9
	v_cmp_ne_u32_e64 s2, -1, v9
	s_or_b32 s14, vcc_lo, s14
	s_delay_alu instid0(VALU_DEP_1)
	s_and_b32 s2, s2, exec_lo
	s_and_b32 s14, s14, exec_lo
	s_or_b32 s17, s17, s2
	s_or_b32 s16, s16, s14
	s_branch .LBB9_23
.LBB9_30:
	s_or_b32 exec_lo, exec_lo, s8
.LBB9_31:
	s_delay_alu instid0(SALU_CYCLE_1)
	s_or_b32 exec_lo, exec_lo, s3
.LBB9_32:
	v_mbcnt_lo_u32_b32 v8, -1, 0
	s_mov_b32 s2, exec_lo
	s_barrier
	buffer_gl0_inv
	v_xor_b32_e32 v1, 16, v8
	v_xor_b32_e32 v2, 8, v8
	v_xor_b32_e32 v11, 1, v8
	s_delay_alu instid0(VALU_DEP_3) | instskip(SKIP_1) | instid1(VALU_DEP_4)
	v_cmp_gt_i32_e32 vcc_lo, 32, v1
	v_cndmask_b32_e32 v1, v8, v1, vcc_lo
	v_cmp_gt_i32_e32 vcc_lo, 32, v2
	v_cndmask_b32_e32 v2, v8, v2, vcc_lo
	s_delay_alu instid0(VALU_DEP_1) | instskip(NEXT) | instid1(VALU_DEP_4)
	v_lshlrev_b32_e32 v2, 2, v2
	v_lshlrev_b32_e32 v1, 2, v1
	ds_bpermute_b32 v3, v1, v7
	s_waitcnt lgkmcnt(0)
	v_add_nc_u32_e32 v7, v3, v7
	v_xor_b32_e32 v3, 4, v8
	ds_bpermute_b32 v9, v2, v7
	v_cmp_gt_i32_e32 vcc_lo, 32, v3
	v_cndmask_b32_e32 v3, v8, v3, vcc_lo
	s_waitcnt lgkmcnt(0)
	v_add_nc_u32_e32 v9, v9, v7
	v_xor_b32_e32 v7, 2, v8
	s_delay_alu instid0(VALU_DEP_1) | instskip(SKIP_2) | instid1(VALU_DEP_2)
	v_cmp_gt_i32_e32 vcc_lo, 32, v7
	v_cndmask_b32_e32 v7, v8, v7, vcc_lo
	v_cmp_gt_i32_e32 vcc_lo, 32, v11
	v_lshlrev_b32_e32 v7, 2, v7
	v_cndmask_b32_e32 v8, v8, v11, vcc_lo
	s_delay_alu instid0(VALU_DEP_1)
	v_lshlrev_b32_e32 v8, 2, v8
	v_lshlrev_b32_e32 v3, 2, v3
	ds_bpermute_b32 v10, v3, v9
	s_waitcnt lgkmcnt(0)
	v_add_nc_u32_e32 v9, v10, v9
	ds_bpermute_b32 v10, v7, v9
	s_waitcnt lgkmcnt(0)
	v_add_nc_u32_e32 v9, v10, v9
	ds_bpermute_b32 v10, v8, v9
	v_cmpx_eq_u32_e32 31, v6
	s_cbranch_execz .LBB9_34
; %bb.33:
	v_lshl_add_u32 v5, v5, 2, 0
	s_waitcnt lgkmcnt(0)
	v_add_nc_u32_e32 v6, v10, v9
	ds_store_b32 v5, v6
.LBB9_34:
	s_or_b32 exec_lo, exec_lo, s2
	v_mov_b32_e32 v5, 0
	s_mov_b32 s2, exec_lo
	s_waitcnt lgkmcnt(0)
	s_barrier
	buffer_gl0_inv
	v_cmpx_gt_u32_e32 32, v0
	s_cbranch_execz .LBB9_36
; %bb.35:
	ds_load_b32 v5, v4
.LBB9_36:
	s_or_b32 exec_lo, exec_lo, s2
	s_waitcnt lgkmcnt(0)
	ds_bpermute_b32 v1, v1, v5
	s_mov_b32 s2, exec_lo
	s_waitcnt lgkmcnt(0)
	v_add_nc_u32_e32 v1, v1, v5
	ds_bpermute_b32 v2, v2, v1
	s_waitcnt lgkmcnt(0)
	v_add_nc_u32_e32 v1, v2, v1
	ds_bpermute_b32 v2, v3, v1
	;; [unrolled: 3-line block ×4, first 2 shown]
	v_cmpx_eq_u32_e32 31, v0
	s_cbranch_execz .LBB9_38
; %bb.37:
	s_load_b64 s[0:1], s[0:1], 0x40
	s_ashr_i32 s13, s12, 31
	s_waitcnt lgkmcnt(0)
	v_dual_mov_b32 v0, 0 :: v_dual_add_nc_u32 v1, v2, v1
	s_lshl_b64 s[2:3], s[12:13], 2
	s_delay_alu instid0(SALU_CYCLE_1)
	s_add_u32 s0, s0, s2
	s_addc_u32 s1, s1, s3
	global_store_b32 v0, v1, s[0:1]
.LBB9_38:
	s_nop 0
	s_sendmsg sendmsg(MSG_DEALLOC_VGPRS)
	s_endpgm
	.section	.rodata,"a",@progbits
	.p2align	6, 0x0
	.amdhsa_kernel _ZN9rocsparseL25csrgemm_nnz_block_per_rowILj1024ELj32ELj8192ELj79EiiEEvPKT4_S3_PKT3_S3_S6_S3_S6_S3_PS4_21rocsparse_index_base_S8_S8_bb
		.amdhsa_group_segment_fixed_size 0
		.amdhsa_private_segment_fixed_size 0
		.amdhsa_kernarg_size 88
		.amdhsa_user_sgpr_count 15
		.amdhsa_user_sgpr_dispatch_ptr 0
		.amdhsa_user_sgpr_queue_ptr 0
		.amdhsa_user_sgpr_kernarg_segment_ptr 1
		.amdhsa_user_sgpr_dispatch_id 0
		.amdhsa_user_sgpr_private_segment_size 0
		.amdhsa_wavefront_size32 1
		.amdhsa_uses_dynamic_stack 0
		.amdhsa_enable_private_segment 0
		.amdhsa_system_sgpr_workgroup_id_x 1
		.amdhsa_system_sgpr_workgroup_id_y 0
		.amdhsa_system_sgpr_workgroup_id_z 0
		.amdhsa_system_sgpr_workgroup_info 0
		.amdhsa_system_vgpr_workitem_id 0
		.amdhsa_next_free_vgpr 14
		.amdhsa_next_free_sgpr 27
		.amdhsa_reserve_vcc 1
		.amdhsa_float_round_mode_32 0
		.amdhsa_float_round_mode_16_64 0
		.amdhsa_float_denorm_mode_32 3
		.amdhsa_float_denorm_mode_16_64 3
		.amdhsa_dx10_clamp 1
		.amdhsa_ieee_mode 1
		.amdhsa_fp16_overflow 0
		.amdhsa_workgroup_processor_mode 1
		.amdhsa_memory_ordered 1
		.amdhsa_forward_progress 0
		.amdhsa_shared_vgpr_count 0
		.amdhsa_exception_fp_ieee_invalid_op 0
		.amdhsa_exception_fp_denorm_src 0
		.amdhsa_exception_fp_ieee_div_zero 0
		.amdhsa_exception_fp_ieee_overflow 0
		.amdhsa_exception_fp_ieee_underflow 0
		.amdhsa_exception_fp_ieee_inexact 0
		.amdhsa_exception_int_div_zero 0
	.end_amdhsa_kernel
	.section	.text._ZN9rocsparseL25csrgemm_nnz_block_per_rowILj1024ELj32ELj8192ELj79EiiEEvPKT4_S3_PKT3_S3_S6_S3_S6_S3_PS4_21rocsparse_index_base_S8_S8_bb,"axG",@progbits,_ZN9rocsparseL25csrgemm_nnz_block_per_rowILj1024ELj32ELj8192ELj79EiiEEvPKT4_S3_PKT3_S3_S6_S3_S6_S3_PS4_21rocsparse_index_base_S8_S8_bb,comdat
.Lfunc_end9:
	.size	_ZN9rocsparseL25csrgemm_nnz_block_per_rowILj1024ELj32ELj8192ELj79EiiEEvPKT4_S3_PKT3_S3_S6_S3_S6_S3_PS4_21rocsparse_index_base_S8_S8_bb, .Lfunc_end9-_ZN9rocsparseL25csrgemm_nnz_block_per_rowILj1024ELj32ELj8192ELj79EiiEEvPKT4_S3_PKT3_S3_S6_S3_S6_S3_PS4_21rocsparse_index_base_S8_S8_bb
                                        ; -- End function
	.section	.AMDGPU.csdata,"",@progbits
; Kernel info:
; codeLenInByte = 1712
; NumSgprs: 29
; NumVgprs: 14
; ScratchSize: 0
; MemoryBound: 0
; FloatMode: 240
; IeeeMode: 1
; LDSByteSize: 0 bytes/workgroup (compile time only)
; SGPRBlocks: 3
; VGPRBlocks: 1
; NumSGPRsForWavesPerEU: 29
; NumVGPRsForWavesPerEU: 14
; Occupancy: 16
; WaveLimiterHint : 1
; COMPUTE_PGM_RSRC2:SCRATCH_EN: 0
; COMPUTE_PGM_RSRC2:USER_SGPR: 15
; COMPUTE_PGM_RSRC2:TRAP_HANDLER: 0
; COMPUTE_PGM_RSRC2:TGID_X_EN: 1
; COMPUTE_PGM_RSRC2:TGID_Y_EN: 0
; COMPUTE_PGM_RSRC2:TGID_Z_EN: 0
; COMPUTE_PGM_RSRC2:TIDIG_COMP_CNT: 0
	.section	.text._ZN9rocsparseL25csrgemm_nnz_block_per_rowILj1024ELj32ELj16384ELj79EiiEEvPKT4_S3_PKT3_S3_S6_S3_S6_S3_PS4_21rocsparse_index_base_S8_S8_bb,"axG",@progbits,_ZN9rocsparseL25csrgemm_nnz_block_per_rowILj1024ELj32ELj16384ELj79EiiEEvPKT4_S3_PKT3_S3_S6_S3_S6_S3_PS4_21rocsparse_index_base_S8_S8_bb,comdat
	.globl	_ZN9rocsparseL25csrgemm_nnz_block_per_rowILj1024ELj32ELj16384ELj79EiiEEvPKT4_S3_PKT3_S3_S6_S3_S6_S3_PS4_21rocsparse_index_base_S8_S8_bb ; -- Begin function _ZN9rocsparseL25csrgemm_nnz_block_per_rowILj1024ELj32ELj16384ELj79EiiEEvPKT4_S3_PKT3_S3_S6_S3_S6_S3_PS4_21rocsparse_index_base_S8_S8_bb
	.p2align	8
	.type	_ZN9rocsparseL25csrgemm_nnz_block_per_rowILj1024ELj32ELj16384ELj79EiiEEvPKT4_S3_PKT3_S3_S6_S3_S6_S3_PS4_21rocsparse_index_base_S8_S8_bb,@function
_ZN9rocsparseL25csrgemm_nnz_block_per_rowILj1024ELj32ELj16384ELj79EiiEEvPKT4_S3_PKT3_S3_S6_S3_S6_S3_PS4_21rocsparse_index_base_S8_S8_bb: ; @_ZN9rocsparseL25csrgemm_nnz_block_per_rowILj1024ELj32ELj16384ELj79EiiEEvPKT4_S3_PKT3_S3_S6_S3_S6_S3_PS4_21rocsparse_index_base_S8_S8_bb
; %bb.0:
	s_load_b256 s[16:23], s[0:1], 0x0
	s_mov_b32 s3, 0
	v_or_b32_e32 v1, 0xfffffc00, v0
	v_lshl_add_u32 v2, v0, 2, 0
	v_mov_b32_e32 v3, -1
	s_waitcnt lgkmcnt(0)
	s_load_b32 s2, s[16:17], 0x0
	s_load_b64 s[16:17], s[0:1], 0x40
	s_waitcnt lgkmcnt(0)
	s_add_i32 s2, s2, s15
	s_delay_alu instid0(SALU_CYCLE_1) | instskip(NEXT) | instid1(SALU_CYCLE_1)
	s_lshl_b64 s[4:5], s[2:3], 2
	s_add_u32 s12, s18, s4
	s_addc_u32 s13, s19, s5
	s_load_b256 s[4:11], s[0:1], 0x20
	s_load_b32 s18, s[12:13], 0x0
.LBB10_1:                               ; =>This Inner Loop Header: Depth=1
	v_add_nc_u32_e32 v1, 0x400, v1
	ds_store_b32 v2, v3
	v_add_nc_u32_e32 v2, 0x1000, v2
	v_cmp_lt_u32_e32 vcc_lo, 0x3bff, v1
	s_or_b32 s3, vcc_lo, s3
	s_delay_alu instid0(SALU_CYCLE_1)
	s_and_not1_b32 exec_lo, exec_lo, s3
	s_cbranch_execnz .LBB10_1
; %bb.2:
	s_or_b32 exec_lo, exec_lo, s3
	s_load_b128 s[12:15], s[0:1], 0x48
	v_dual_mov_b32 v6, 0 :: v_dual_and_b32 v5, 31, v0
	v_lshrrev_b32_e32 v4, 5, v0
	s_waitcnt lgkmcnt(0)
	s_barrier
	buffer_gl0_inv
	s_bitcmp1_b32 s15, 0
	s_cselect_b32 s2, -1, 0
	s_delay_alu instid0(SALU_CYCLE_1)
	s_and_b32 vcc_lo, exec_lo, s2
	s_cbranch_vccz .LBB10_20
; %bb.3:
	s_ashr_i32 s19, s18, 31
	v_subrev_nc_u32_e32 v1, s12, v4
	s_lshl_b64 s[2:3], s[18:19], 2
	v_mov_b32_e32 v6, 0
	s_add_u32 s2, s20, s2
	s_addc_u32 s3, s21, s3
	s_load_b64 s[2:3], s[2:3], 0x0
	s_waitcnt lgkmcnt(0)
	v_add_nc_u32_e32 v1, s2, v1
	s_sub_i32 s15, s3, s12
	s_mov_b32 s3, exec_lo
	s_delay_alu instid0(VALU_DEP_1)
	v_cmpx_gt_i32_e64 s15, v1
	s_cbranch_execz .LBB10_19
; %bb.4:
	v_subrev_nc_u32_e32 v7, s13, v5
	v_mov_b32_e32 v6, 0
	v_mov_b32_e32 v8, -1
	s_mov_b32 s19, 0
	s_branch .LBB10_7
.LBB10_5:                               ;   in Loop: Header=BB10_7 Depth=1
	s_or_b32 exec_lo, exec_lo, s21
.LBB10_6:                               ;   in Loop: Header=BB10_7 Depth=1
	s_delay_alu instid0(SALU_CYCLE_1) | instskip(SKIP_1) | instid1(VALU_DEP_1)
	s_or_b32 exec_lo, exec_lo, s20
	v_add_nc_u32_e32 v1, 32, v1
	v_cmp_le_i32_e32 vcc_lo, s15, v1
	s_or_b32 s19, vcc_lo, s19
	s_delay_alu instid0(SALU_CYCLE_1)
	s_and_not1_b32 exec_lo, exec_lo, s19
	s_cbranch_execz .LBB10_18
.LBB10_7:                               ; =>This Loop Header: Depth=1
                                        ;     Child Loop BB10_10 Depth 2
                                        ;       Child Loop BB10_13 Depth 3
	v_ashrrev_i32_e32 v2, 31, v1
	s_mov_b32 s20, exec_lo
	s_delay_alu instid0(VALU_DEP_1) | instskip(NEXT) | instid1(VALU_DEP_1)
	v_lshlrev_b64 v[2:3], 2, v[1:2]
	v_add_co_u32 v2, vcc_lo, s22, v2
	s_delay_alu instid0(VALU_DEP_2) | instskip(SKIP_3) | instid1(VALU_DEP_1)
	v_add_co_ci_u32_e32 v3, vcc_lo, s23, v3, vcc_lo
	global_load_b32 v2, v[2:3], off
	s_waitcnt vmcnt(0)
	v_subrev_nc_u32_e32 v2, s12, v2
	v_ashrrev_i32_e32 v3, 31, v2
	s_delay_alu instid0(VALU_DEP_1) | instskip(NEXT) | instid1(VALU_DEP_1)
	v_lshlrev_b64 v[2:3], 2, v[2:3]
	v_add_co_u32 v2, vcc_lo, s4, v2
	s_delay_alu instid0(VALU_DEP_2) | instskip(SKIP_4) | instid1(VALU_DEP_1)
	v_add_co_ci_u32_e32 v3, vcc_lo, s5, v3, vcc_lo
	global_load_b64 v[2:3], v[2:3], off
	s_waitcnt vmcnt(0)
	v_subrev_nc_u32_e32 v9, s13, v3
	v_add_nc_u32_e32 v2, v7, v2
	v_cmpx_lt_i32_e64 v2, v9
	s_cbranch_execz .LBB10_6
; %bb.8:                                ;   in Loop: Header=BB10_7 Depth=1
	s_mov_b32 s21, 0
	s_branch .LBB10_10
.LBB10_9:                               ;   in Loop: Header=BB10_10 Depth=2
	s_or_b32 exec_lo, exec_lo, s25
	v_add_nc_u32_e32 v2, 32, v2
	v_cndmask_b32_e64 v3, 0, 1, s24
	s_delay_alu instid0(VALU_DEP_2) | instskip(NEXT) | instid1(VALU_DEP_2)
	v_cmp_ge_i32_e32 vcc_lo, v2, v9
	v_add_nc_u32_e32 v6, v6, v3
	s_or_b32 s21, vcc_lo, s21
	s_delay_alu instid0(SALU_CYCLE_1)
	s_and_not1_b32 exec_lo, exec_lo, s21
	s_cbranch_execz .LBB10_5
.LBB10_10:                              ;   Parent Loop BB10_7 Depth=1
                                        ; =>  This Loop Header: Depth=2
                                        ;       Child Loop BB10_13 Depth 3
	v_ashrrev_i32_e32 v3, 31, v2
	s_mov_b32 s25, 0
                                        ; implicit-def: $sgpr24
                                        ; implicit-def: $sgpr26
                                        ; implicit-def: $sgpr27
                                        ; implicit-def: $sgpr28
	s_delay_alu instid0(VALU_DEP_1) | instskip(NEXT) | instid1(VALU_DEP_1)
	v_lshlrev_b64 v[10:11], 2, v[2:3]
	v_add_co_u32 v10, vcc_lo, s6, v10
	s_delay_alu instid0(VALU_DEP_2) | instskip(SKIP_3) | instid1(VALU_DEP_1)
	v_add_co_ci_u32_e32 v11, vcc_lo, s7, v11, vcc_lo
	global_load_b32 v3, v[10:11], off
	s_waitcnt vmcnt(0)
	v_subrev_nc_u32_e32 v3, s13, v3
	v_mul_lo_u32 v10, 0x4f, v3
	s_delay_alu instid0(VALU_DEP_1)
	v_and_b32_e32 v10, 0x3fff, v10
	s_branch .LBB10_13
.LBB10_11:                              ;   in Loop: Header=BB10_13 Depth=3
	s_or_b32 exec_lo, exec_lo, s33
	s_delay_alu instid0(SALU_CYCLE_1)
	s_and_not1_b32 s2, s27, exec_lo
	s_and_b32 s27, s30, exec_lo
	s_and_not1_b32 s26, s26, exec_lo
	s_and_b32 s28, s31, exec_lo
	s_or_b32 s27, s2, s27
	s_or_b32 s26, s26, s28
                                        ; implicit-def: $sgpr28
.LBB10_12:                              ;   in Loop: Header=BB10_13 Depth=3
	s_or_b32 exec_lo, exec_lo, s29
	s_xor_b32 s2, s26, -1
	s_delay_alu instid0(SALU_CYCLE_1) | instskip(NEXT) | instid1(SALU_CYCLE_1)
	s_and_b32 s2, exec_lo, s2
	s_or_b32 s25, s2, s25
	s_and_not1_b32 s2, s28, exec_lo
	s_and_b32 s29, s27, exec_lo
	s_and_not1_b32 s24, s24, exec_lo
	s_or_b32 s28, s2, s29
	s_or_b32 s24, s24, s29
	s_and_not1_b32 exec_lo, exec_lo, s25
	s_cbranch_execz .LBB10_9
.LBB10_13:                              ;   Parent Loop BB10_7 Depth=1
                                        ;     Parent Loop BB10_10 Depth=2
                                        ; =>    This Inner Loop Header: Depth=3
	s_delay_alu instid0(VALU_DEP_1)
	v_lshl_add_u32 v11, v10, 2, 0
	s_and_not1_b32 s27, s27, exec_lo
	s_and_not1_b32 s26, s26, exec_lo
	s_mov_b32 s29, exec_lo
	ds_load_b32 v12, v11
	s_waitcnt lgkmcnt(0)
	v_cmpx_ne_u32_e64 v12, v3
	s_cbranch_execz .LBB10_12
; %bb.14:                               ;   in Loop: Header=BB10_13 Depth=3
	s_mov_b32 s2, exec_lo
                                        ; implicit-def: $sgpr30
                                        ; implicit-def: $sgpr31
	v_cmpx_ne_u32_e32 -1, v12
	s_xor_b32 s2, exec_lo, s2
; %bb.15:                               ;   in Loop: Header=BB10_13 Depth=3
	v_add_nc_u32_e32 v10, 1, v10
	s_mov_b32 s31, -1
	s_and_b32 s30, s28, exec_lo
                                        ; implicit-def: $vgpr11
	s_delay_alu instid0(VALU_DEP_1)
	v_and_b32_e32 v10, 0x3fff, v10
; %bb.16:                               ;   in Loop: Header=BB10_13 Depth=3
	s_and_not1_saveexec_b32 s33, s2
	s_cbranch_execz .LBB10_11
; %bb.17:                               ;   in Loop: Header=BB10_13 Depth=3
	ds_cmpstore_rtn_b32 v11, v11, v3, v8
	s_and_not1_b32 s31, s31, exec_lo
	s_and_not1_b32 s30, s30, exec_lo
	s_waitcnt lgkmcnt(0)
	v_cmp_eq_u32_e32 vcc_lo, -1, v11
	v_cmp_ne_u32_e64 s2, -1, v11
	s_or_b32 s28, vcc_lo, s28
	s_delay_alu instid0(VALU_DEP_1)
	s_and_b32 s2, s2, exec_lo
	s_and_b32 s28, s28, exec_lo
	s_or_b32 s31, s31, s2
	s_or_b32 s30, s30, s28
	s_branch .LBB10_11
.LBB10_18:
	s_or_b32 exec_lo, exec_lo, s19
.LBB10_19:
	s_delay_alu instid0(SALU_CYCLE_1)
	s_or_b32 exec_lo, exec_lo, s3
.LBB10_20:
	s_load_b32 s0, s[0:1], 0x54
	s_waitcnt lgkmcnt(0)
	s_bfe_u32 s0, s0, 0x10008
	s_delay_alu instid0(SALU_CYCLE_1)
	s_cmp_eq_u32 s0, 0
	s_cbranch_scc1 .LBB10_34
; %bb.21:
	s_ashr_i32 s19, s18, 31
	v_subrev_nc_u32_e32 v1, s14, v4
	s_lshl_b64 s[0:1], s[18:19], 2
	s_delay_alu instid0(SALU_CYCLE_1)
	s_add_u32 s0, s8, s0
	s_addc_u32 s1, s9, s1
	s_load_b64 s[0:1], s[0:1], 0x0
	s_waitcnt lgkmcnt(0)
	v_add_nc_u32_e32 v1, s0, v1
	s_sub_i32 s2, s1, s14
	s_mov_b32 s1, exec_lo
	s_delay_alu instid0(VALU_DEP_1)
	v_cmpx_gt_i32_e64 s2, v1
	s_cbranch_execz .LBB10_33
; %bb.22:
	v_mov_b32_e32 v3, -1
	s_mov_b32 s3, 0
	s_branch .LBB10_24
.LBB10_23:                              ;   in Loop: Header=BB10_24 Depth=1
	s_or_b32 exec_lo, exec_lo, s5
	v_add_nc_u32_e32 v1, 32, v1
	v_cndmask_b32_e64 v2, 0, 1, s4
	s_delay_alu instid0(VALU_DEP_2) | instskip(NEXT) | instid1(VALU_DEP_2)
	v_cmp_le_i32_e32 vcc_lo, s2, v1
	v_add_nc_u32_e32 v6, v6, v2
	s_or_b32 s3, vcc_lo, s3
	s_delay_alu instid0(SALU_CYCLE_1)
	s_and_not1_b32 exec_lo, exec_lo, s3
	s_cbranch_execz .LBB10_32
.LBB10_24:                              ; =>This Loop Header: Depth=1
                                        ;     Child Loop BB10_27 Depth 2
	v_ashrrev_i32_e32 v2, 31, v1
	s_mov_b32 s5, 0
                                        ; implicit-def: $sgpr4
                                        ; implicit-def: $sgpr6
                                        ; implicit-def: $sgpr7
                                        ; implicit-def: $sgpr8
	s_delay_alu instid0(VALU_DEP_1) | instskip(NEXT) | instid1(VALU_DEP_1)
	v_lshlrev_b64 v[7:8], 2, v[1:2]
	v_add_co_u32 v7, vcc_lo, s10, v7
	s_delay_alu instid0(VALU_DEP_2) | instskip(SKIP_3) | instid1(VALU_DEP_1)
	v_add_co_ci_u32_e32 v8, vcc_lo, s11, v8, vcc_lo
	global_load_b32 v2, v[7:8], off
	s_waitcnt vmcnt(0)
	v_subrev_nc_u32_e32 v2, s14, v2
	v_mul_lo_u32 v7, 0x4f, v2
	s_delay_alu instid0(VALU_DEP_1)
	v_and_b32_e32 v7, 0x3fff, v7
	s_branch .LBB10_27
.LBB10_25:                              ;   in Loop: Header=BB10_27 Depth=2
	s_or_b32 exec_lo, exec_lo, s15
	s_delay_alu instid0(SALU_CYCLE_1)
	s_and_not1_b32 s0, s7, exec_lo
	s_and_b32 s7, s12, exec_lo
	s_and_not1_b32 s6, s6, exec_lo
	s_and_b32 s8, s13, exec_lo
	s_or_b32 s7, s0, s7
	s_or_b32 s6, s6, s8
                                        ; implicit-def: $sgpr8
.LBB10_26:                              ;   in Loop: Header=BB10_27 Depth=2
	s_or_b32 exec_lo, exec_lo, s9
	s_xor_b32 s0, s6, -1
	s_delay_alu instid0(SALU_CYCLE_1) | instskip(NEXT) | instid1(SALU_CYCLE_1)
	s_and_b32 s0, exec_lo, s0
	s_or_b32 s5, s0, s5
	s_and_not1_b32 s0, s8, exec_lo
	s_and_b32 s9, s7, exec_lo
	s_and_not1_b32 s4, s4, exec_lo
	s_or_b32 s8, s0, s9
	s_or_b32 s4, s4, s9
	s_and_not1_b32 exec_lo, exec_lo, s5
	s_cbranch_execz .LBB10_23
.LBB10_27:                              ;   Parent Loop BB10_24 Depth=1
                                        ; =>  This Inner Loop Header: Depth=2
	s_delay_alu instid0(VALU_DEP_1)
	v_lshl_add_u32 v8, v7, 2, 0
	s_and_not1_b32 s7, s7, exec_lo
	s_and_not1_b32 s6, s6, exec_lo
	s_mov_b32 s9, exec_lo
	ds_load_b32 v9, v8
	s_waitcnt lgkmcnt(0)
	v_cmpx_ne_u32_e64 v9, v2
	s_cbranch_execz .LBB10_26
; %bb.28:                               ;   in Loop: Header=BB10_27 Depth=2
	s_mov_b32 s0, exec_lo
                                        ; implicit-def: $sgpr12
                                        ; implicit-def: $sgpr13
	v_cmpx_ne_u32_e32 -1, v9
	s_xor_b32 s0, exec_lo, s0
; %bb.29:                               ;   in Loop: Header=BB10_27 Depth=2
	v_add_nc_u32_e32 v7, 1, v7
	s_mov_b32 s13, -1
	s_and_b32 s12, s8, exec_lo
                                        ; implicit-def: $vgpr8
	s_delay_alu instid0(VALU_DEP_1)
	v_and_b32_e32 v7, 0x3fff, v7
; %bb.30:                               ;   in Loop: Header=BB10_27 Depth=2
	s_and_not1_saveexec_b32 s15, s0
	s_cbranch_execz .LBB10_25
; %bb.31:                               ;   in Loop: Header=BB10_27 Depth=2
	ds_cmpstore_rtn_b32 v8, v8, v2, v3
	s_and_not1_b32 s13, s13, exec_lo
	s_and_not1_b32 s12, s12, exec_lo
	s_waitcnt lgkmcnt(0)
	v_cmp_eq_u32_e32 vcc_lo, -1, v8
	v_cmp_ne_u32_e64 s0, -1, v8
	s_or_b32 s8, vcc_lo, s8
	s_delay_alu instid0(VALU_DEP_1)
	s_and_b32 s0, s0, exec_lo
	s_and_b32 s8, s8, exec_lo
	s_or_b32 s13, s13, s0
	s_or_b32 s12, s12, s8
	s_branch .LBB10_25
.LBB10_32:
	s_or_b32 exec_lo, exec_lo, s3
.LBB10_33:
	s_delay_alu instid0(SALU_CYCLE_1)
	s_or_b32 exec_lo, exec_lo, s1
.LBB10_34:
	v_mbcnt_lo_u32_b32 v7, -1, 0
	s_mov_b32 s0, exec_lo
	s_barrier
	buffer_gl0_inv
	v_xor_b32_e32 v1, 16, v7
	v_xor_b32_e32 v2, 8, v7
	;; [unrolled: 1-line block ×3, first 2 shown]
	s_delay_alu instid0(VALU_DEP_3) | instskip(SKIP_1) | instid1(VALU_DEP_4)
	v_cmp_gt_i32_e32 vcc_lo, 32, v1
	v_cndmask_b32_e32 v1, v7, v1, vcc_lo
	v_cmp_gt_i32_e32 vcc_lo, 32, v2
	v_cndmask_b32_e32 v2, v7, v2, vcc_lo
	s_delay_alu instid0(VALU_DEP_1) | instskip(NEXT) | instid1(VALU_DEP_4)
	v_lshlrev_b32_e32 v2, 2, v2
	v_lshlrev_b32_e32 v1, 2, v1
	ds_bpermute_b32 v3, v1, v6
	s_waitcnt lgkmcnt(0)
	v_add_nc_u32_e32 v6, v3, v6
	v_xor_b32_e32 v3, 4, v7
	ds_bpermute_b32 v8, v2, v6
	v_cmp_gt_i32_e32 vcc_lo, 32, v3
	s_waitcnt lgkmcnt(0)
	v_dual_cndmask_b32 v3, v7, v3 :: v_dual_add_nc_u32 v8, v8, v6
	s_delay_alu instid0(VALU_DEP_1)
	v_lshlrev_b32_e32 v3, 2, v3
	v_xor_b32_e32 v6, 2, v7
	ds_bpermute_b32 v9, v3, v8
	v_cmp_gt_i32_e32 vcc_lo, 32, v6
	v_cndmask_b32_e32 v6, v7, v6, vcc_lo
	v_cmp_gt_i32_e32 vcc_lo, 32, v10
	s_delay_alu instid0(VALU_DEP_2) | instskip(SKIP_1) | instid1(VALU_DEP_1)
	v_lshlrev_b32_e32 v6, 2, v6
	v_cndmask_b32_e32 v7, v7, v10, vcc_lo
	v_lshlrev_b32_e32 v7, 2, v7
	s_waitcnt lgkmcnt(0)
	v_add_nc_u32_e32 v8, v9, v8
	ds_bpermute_b32 v9, v6, v8
	s_waitcnt lgkmcnt(0)
	v_add_nc_u32_e32 v8, v9, v8
	ds_bpermute_b32 v9, v7, v8
	v_cmpx_eq_u32_e32 31, v5
	s_cbranch_execz .LBB10_36
; %bb.35:
	v_lshl_add_u32 v4, v4, 2, 0
	s_waitcnt lgkmcnt(0)
	v_add_nc_u32_e32 v5, v9, v8
	ds_store_b32 v4, v5
.LBB10_36:
	s_or_b32 exec_lo, exec_lo, s0
	v_mov_b32_e32 v4, 0
	s_mov_b32 s0, exec_lo
	s_waitcnt lgkmcnt(0)
	s_barrier
	buffer_gl0_inv
	v_cmpx_gt_u32_e32 32, v0
	s_cbranch_execz .LBB10_38
; %bb.37:
	v_lshl_add_u32 v4, v0, 2, 0
	ds_load_b32 v4, v4
.LBB10_38:
	s_or_b32 exec_lo, exec_lo, s0
	s_waitcnt lgkmcnt(0)
	ds_bpermute_b32 v1, v1, v4
	s_mov_b32 s0, exec_lo
	s_waitcnt lgkmcnt(0)
	v_add_nc_u32_e32 v1, v1, v4
	ds_bpermute_b32 v2, v2, v1
	s_waitcnt lgkmcnt(0)
	v_add_nc_u32_e32 v1, v2, v1
	ds_bpermute_b32 v2, v3, v1
	;; [unrolled: 3-line block ×4, first 2 shown]
	v_cmpx_eq_u32_e32 31, v0
	s_cbranch_execz .LBB10_40
; %bb.39:
	s_ashr_i32 s19, s18, 31
	s_waitcnt lgkmcnt(0)
	v_dual_mov_b32 v0, 0 :: v_dual_add_nc_u32 v1, v2, v1
	s_lshl_b64 s[0:1], s[18:19], 2
	s_delay_alu instid0(SALU_CYCLE_1)
	s_add_u32 s0, s16, s0
	s_addc_u32 s1, s17, s1
	global_store_b32 v0, v1, s[0:1]
.LBB10_40:
	s_nop 0
	s_sendmsg sendmsg(MSG_DEALLOC_VGPRS)
	s_endpgm
	.section	.rodata,"a",@progbits
	.p2align	6, 0x0
	.amdhsa_kernel _ZN9rocsparseL25csrgemm_nnz_block_per_rowILj1024ELj32ELj16384ELj79EiiEEvPKT4_S3_PKT3_S3_S6_S3_S6_S3_PS4_21rocsparse_index_base_S8_S8_bb
		.amdhsa_group_segment_fixed_size 0
		.amdhsa_private_segment_fixed_size 0
		.amdhsa_kernarg_size 88
		.amdhsa_user_sgpr_count 15
		.amdhsa_user_sgpr_dispatch_ptr 0
		.amdhsa_user_sgpr_queue_ptr 0
		.amdhsa_user_sgpr_kernarg_segment_ptr 1
		.amdhsa_user_sgpr_dispatch_id 0
		.amdhsa_user_sgpr_private_segment_size 0
		.amdhsa_wavefront_size32 1
		.amdhsa_uses_dynamic_stack 0
		.amdhsa_enable_private_segment 0
		.amdhsa_system_sgpr_workgroup_id_x 1
		.amdhsa_system_sgpr_workgroup_id_y 0
		.amdhsa_system_sgpr_workgroup_id_z 0
		.amdhsa_system_sgpr_workgroup_info 0
		.amdhsa_system_vgpr_workitem_id 0
		.amdhsa_next_free_vgpr 13
		.amdhsa_next_free_sgpr 34
		.amdhsa_reserve_vcc 1
		.amdhsa_float_round_mode_32 0
		.amdhsa_float_round_mode_16_64 0
		.amdhsa_float_denorm_mode_32 3
		.amdhsa_float_denorm_mode_16_64 3
		.amdhsa_dx10_clamp 1
		.amdhsa_ieee_mode 1
		.amdhsa_fp16_overflow 0
		.amdhsa_workgroup_processor_mode 1
		.amdhsa_memory_ordered 1
		.amdhsa_forward_progress 0
		.amdhsa_shared_vgpr_count 0
		.amdhsa_exception_fp_ieee_invalid_op 0
		.amdhsa_exception_fp_denorm_src 0
		.amdhsa_exception_fp_ieee_div_zero 0
		.amdhsa_exception_fp_ieee_overflow 0
		.amdhsa_exception_fp_ieee_underflow 0
		.amdhsa_exception_fp_ieee_inexact 0
		.amdhsa_exception_int_div_zero 0
	.end_amdhsa_kernel
	.section	.text._ZN9rocsparseL25csrgemm_nnz_block_per_rowILj1024ELj32ELj16384ELj79EiiEEvPKT4_S3_PKT3_S3_S6_S3_S6_S3_PS4_21rocsparse_index_base_S8_S8_bb,"axG",@progbits,_ZN9rocsparseL25csrgemm_nnz_block_per_rowILj1024ELj32ELj16384ELj79EiiEEvPKT4_S3_PKT3_S3_S6_S3_S6_S3_PS4_21rocsparse_index_base_S8_S8_bb,comdat
.Lfunc_end10:
	.size	_ZN9rocsparseL25csrgemm_nnz_block_per_rowILj1024ELj32ELj16384ELj79EiiEEvPKT4_S3_PKT3_S3_S6_S3_S6_S3_PS4_21rocsparse_index_base_S8_S8_bb, .Lfunc_end10-_ZN9rocsparseL25csrgemm_nnz_block_per_rowILj1024ELj32ELj16384ELj79EiiEEvPKT4_S3_PKT3_S3_S6_S3_S6_S3_PS4_21rocsparse_index_base_S8_S8_bb
                                        ; -- End function
	.section	.AMDGPU.csdata,"",@progbits
; Kernel info:
; codeLenInByte = 1708
; NumSgprs: 36
; NumVgprs: 13
; ScratchSize: 0
; MemoryBound: 0
; FloatMode: 240
; IeeeMode: 1
; LDSByteSize: 0 bytes/workgroup (compile time only)
; SGPRBlocks: 4
; VGPRBlocks: 1
; NumSGPRsForWavesPerEU: 36
; NumVGPRsForWavesPerEU: 13
; Occupancy: 16
; WaveLimiterHint : 1
; COMPUTE_PGM_RSRC2:SCRATCH_EN: 0
; COMPUTE_PGM_RSRC2:USER_SGPR: 15
; COMPUTE_PGM_RSRC2:TRAP_HANDLER: 0
; COMPUTE_PGM_RSRC2:TGID_X_EN: 1
; COMPUTE_PGM_RSRC2:TGID_Y_EN: 0
; COMPUTE_PGM_RSRC2:TGID_Z_EN: 0
; COMPUTE_PGM_RSRC2:TIDIG_COMP_CNT: 0
	.section	.text._ZN9rocsparseL25csrgemm_nnz_block_per_rowILj1024ELj32ELj32768ELj79EiiEEvPKT4_S3_PKT3_S3_S6_S3_S6_S3_PS4_21rocsparse_index_base_S8_S8_bb,"axG",@progbits,_ZN9rocsparseL25csrgemm_nnz_block_per_rowILj1024ELj32ELj32768ELj79EiiEEvPKT4_S3_PKT3_S3_S6_S3_S6_S3_PS4_21rocsparse_index_base_S8_S8_bb,comdat
	.globl	_ZN9rocsparseL25csrgemm_nnz_block_per_rowILj1024ELj32ELj32768ELj79EiiEEvPKT4_S3_PKT3_S3_S6_S3_S6_S3_PS4_21rocsparse_index_base_S8_S8_bb ; -- Begin function _ZN9rocsparseL25csrgemm_nnz_block_per_rowILj1024ELj32ELj32768ELj79EiiEEvPKT4_S3_PKT3_S3_S6_S3_S6_S3_PS4_21rocsparse_index_base_S8_S8_bb
	.p2align	8
	.type	_ZN9rocsparseL25csrgemm_nnz_block_per_rowILj1024ELj32ELj32768ELj79EiiEEvPKT4_S3_PKT3_S3_S6_S3_S6_S3_PS4_21rocsparse_index_base_S8_S8_bb,@function
_ZN9rocsparseL25csrgemm_nnz_block_per_rowILj1024ELj32ELj32768ELj79EiiEEvPKT4_S3_PKT3_S3_S6_S3_S6_S3_PS4_21rocsparse_index_base_S8_S8_bb: ; @_ZN9rocsparseL25csrgemm_nnz_block_per_rowILj1024ELj32ELj32768ELj79EiiEEvPKT4_S3_PKT3_S3_S6_S3_S6_S3_PS4_21rocsparse_index_base_S8_S8_bb
; %bb.0:
	s_load_b256 s[16:23], s[0:1], 0x0
	s_mov_b32 s3, 0
	v_or_b32_e32 v1, 0xfffffc00, v0
	v_lshl_add_u32 v2, v0, 2, 0
	v_mov_b32_e32 v3, -1
	s_waitcnt lgkmcnt(0)
	s_load_b32 s2, s[16:17], 0x0
	s_load_b64 s[16:17], s[0:1], 0x40
	s_waitcnt lgkmcnt(0)
	s_add_i32 s2, s2, s15
	s_delay_alu instid0(SALU_CYCLE_1) | instskip(NEXT) | instid1(SALU_CYCLE_1)
	s_lshl_b64 s[4:5], s[2:3], 2
	s_add_u32 s12, s18, s4
	s_addc_u32 s13, s19, s5
	s_load_b256 s[4:11], s[0:1], 0x20
	s_load_b32 s18, s[12:13], 0x0
.LBB11_1:                               ; =>This Inner Loop Header: Depth=1
	v_add_nc_u32_e32 v1, 0x400, v1
	ds_store_b32 v2, v3
	v_add_nc_u32_e32 v2, 0x1000, v2
	v_cmp_lt_u32_e32 vcc_lo, 0x7bff, v1
	s_or_b32 s3, vcc_lo, s3
	s_delay_alu instid0(SALU_CYCLE_1)
	s_and_not1_b32 exec_lo, exec_lo, s3
	s_cbranch_execnz .LBB11_1
; %bb.2:
	s_or_b32 exec_lo, exec_lo, s3
	s_load_b128 s[12:15], s[0:1], 0x48
	v_dual_mov_b32 v6, 0 :: v_dual_and_b32 v5, 31, v0
	v_lshrrev_b32_e32 v4, 5, v0
	s_waitcnt lgkmcnt(0)
	s_barrier
	buffer_gl0_inv
	s_bitcmp1_b32 s15, 0
	s_cselect_b32 s2, -1, 0
	s_delay_alu instid0(SALU_CYCLE_1)
	s_and_b32 vcc_lo, exec_lo, s2
	s_cbranch_vccz .LBB11_20
; %bb.3:
	s_ashr_i32 s19, s18, 31
	v_subrev_nc_u32_e32 v1, s12, v4
	s_lshl_b64 s[2:3], s[18:19], 2
	v_mov_b32_e32 v6, 0
	s_add_u32 s2, s20, s2
	s_addc_u32 s3, s21, s3
	s_load_b64 s[2:3], s[2:3], 0x0
	s_waitcnt lgkmcnt(0)
	v_add_nc_u32_e32 v1, s2, v1
	s_sub_i32 s15, s3, s12
	s_mov_b32 s3, exec_lo
	s_delay_alu instid0(VALU_DEP_1)
	v_cmpx_gt_i32_e64 s15, v1
	s_cbranch_execz .LBB11_19
; %bb.4:
	v_subrev_nc_u32_e32 v7, s13, v5
	v_mov_b32_e32 v6, 0
	v_mov_b32_e32 v8, -1
	s_mov_b32 s19, 0
	s_branch .LBB11_7
.LBB11_5:                               ;   in Loop: Header=BB11_7 Depth=1
	s_or_b32 exec_lo, exec_lo, s21
.LBB11_6:                               ;   in Loop: Header=BB11_7 Depth=1
	s_delay_alu instid0(SALU_CYCLE_1) | instskip(SKIP_1) | instid1(VALU_DEP_1)
	s_or_b32 exec_lo, exec_lo, s20
	v_add_nc_u32_e32 v1, 32, v1
	v_cmp_le_i32_e32 vcc_lo, s15, v1
	s_or_b32 s19, vcc_lo, s19
	s_delay_alu instid0(SALU_CYCLE_1)
	s_and_not1_b32 exec_lo, exec_lo, s19
	s_cbranch_execz .LBB11_18
.LBB11_7:                               ; =>This Loop Header: Depth=1
                                        ;     Child Loop BB11_10 Depth 2
                                        ;       Child Loop BB11_13 Depth 3
	v_ashrrev_i32_e32 v2, 31, v1
	s_mov_b32 s20, exec_lo
	s_delay_alu instid0(VALU_DEP_1) | instskip(NEXT) | instid1(VALU_DEP_1)
	v_lshlrev_b64 v[2:3], 2, v[1:2]
	v_add_co_u32 v2, vcc_lo, s22, v2
	s_delay_alu instid0(VALU_DEP_2) | instskip(SKIP_3) | instid1(VALU_DEP_1)
	v_add_co_ci_u32_e32 v3, vcc_lo, s23, v3, vcc_lo
	global_load_b32 v2, v[2:3], off
	s_waitcnt vmcnt(0)
	v_subrev_nc_u32_e32 v2, s12, v2
	v_ashrrev_i32_e32 v3, 31, v2
	s_delay_alu instid0(VALU_DEP_1) | instskip(NEXT) | instid1(VALU_DEP_1)
	v_lshlrev_b64 v[2:3], 2, v[2:3]
	v_add_co_u32 v2, vcc_lo, s4, v2
	s_delay_alu instid0(VALU_DEP_2) | instskip(SKIP_4) | instid1(VALU_DEP_1)
	v_add_co_ci_u32_e32 v3, vcc_lo, s5, v3, vcc_lo
	global_load_b64 v[2:3], v[2:3], off
	s_waitcnt vmcnt(0)
	v_subrev_nc_u32_e32 v9, s13, v3
	v_add_nc_u32_e32 v2, v7, v2
	v_cmpx_lt_i32_e64 v2, v9
	s_cbranch_execz .LBB11_6
; %bb.8:                                ;   in Loop: Header=BB11_7 Depth=1
	s_mov_b32 s21, 0
	s_branch .LBB11_10
.LBB11_9:                               ;   in Loop: Header=BB11_10 Depth=2
	s_or_b32 exec_lo, exec_lo, s25
	v_add_nc_u32_e32 v2, 32, v2
	v_cndmask_b32_e64 v3, 0, 1, s24
	s_delay_alu instid0(VALU_DEP_2) | instskip(NEXT) | instid1(VALU_DEP_2)
	v_cmp_ge_i32_e32 vcc_lo, v2, v9
	v_add_nc_u32_e32 v6, v6, v3
	s_or_b32 s21, vcc_lo, s21
	s_delay_alu instid0(SALU_CYCLE_1)
	s_and_not1_b32 exec_lo, exec_lo, s21
	s_cbranch_execz .LBB11_5
.LBB11_10:                              ;   Parent Loop BB11_7 Depth=1
                                        ; =>  This Loop Header: Depth=2
                                        ;       Child Loop BB11_13 Depth 3
	v_ashrrev_i32_e32 v3, 31, v2
	s_mov_b32 s25, 0
                                        ; implicit-def: $sgpr24
                                        ; implicit-def: $sgpr26
                                        ; implicit-def: $sgpr27
                                        ; implicit-def: $sgpr28
	s_delay_alu instid0(VALU_DEP_1) | instskip(NEXT) | instid1(VALU_DEP_1)
	v_lshlrev_b64 v[10:11], 2, v[2:3]
	v_add_co_u32 v10, vcc_lo, s6, v10
	s_delay_alu instid0(VALU_DEP_2) | instskip(SKIP_3) | instid1(VALU_DEP_1)
	v_add_co_ci_u32_e32 v11, vcc_lo, s7, v11, vcc_lo
	global_load_b32 v3, v[10:11], off
	s_waitcnt vmcnt(0)
	v_subrev_nc_u32_e32 v3, s13, v3
	v_mul_lo_u32 v10, 0x4f, v3
	s_delay_alu instid0(VALU_DEP_1)
	v_and_b32_e32 v10, 0x7fff, v10
	s_branch .LBB11_13
.LBB11_11:                              ;   in Loop: Header=BB11_13 Depth=3
	s_or_b32 exec_lo, exec_lo, s33
	s_delay_alu instid0(SALU_CYCLE_1)
	s_and_not1_b32 s2, s27, exec_lo
	s_and_b32 s27, s30, exec_lo
	s_and_not1_b32 s26, s26, exec_lo
	s_and_b32 s28, s31, exec_lo
	s_or_b32 s27, s2, s27
	s_or_b32 s26, s26, s28
                                        ; implicit-def: $sgpr28
.LBB11_12:                              ;   in Loop: Header=BB11_13 Depth=3
	s_or_b32 exec_lo, exec_lo, s29
	s_xor_b32 s2, s26, -1
	s_delay_alu instid0(SALU_CYCLE_1) | instskip(NEXT) | instid1(SALU_CYCLE_1)
	s_and_b32 s2, exec_lo, s2
	s_or_b32 s25, s2, s25
	s_and_not1_b32 s2, s28, exec_lo
	s_and_b32 s29, s27, exec_lo
	s_and_not1_b32 s24, s24, exec_lo
	s_or_b32 s28, s2, s29
	s_or_b32 s24, s24, s29
	s_and_not1_b32 exec_lo, exec_lo, s25
	s_cbranch_execz .LBB11_9
.LBB11_13:                              ;   Parent Loop BB11_7 Depth=1
                                        ;     Parent Loop BB11_10 Depth=2
                                        ; =>    This Inner Loop Header: Depth=3
	s_delay_alu instid0(VALU_DEP_1)
	v_lshl_add_u32 v11, v10, 2, 0
	s_and_not1_b32 s27, s27, exec_lo
	s_and_not1_b32 s26, s26, exec_lo
	s_mov_b32 s29, exec_lo
	ds_load_b32 v12, v11
	s_waitcnt lgkmcnt(0)
	v_cmpx_ne_u32_e64 v12, v3
	s_cbranch_execz .LBB11_12
; %bb.14:                               ;   in Loop: Header=BB11_13 Depth=3
	s_mov_b32 s2, exec_lo
                                        ; implicit-def: $sgpr30
                                        ; implicit-def: $sgpr31
	v_cmpx_ne_u32_e32 -1, v12
	s_xor_b32 s2, exec_lo, s2
; %bb.15:                               ;   in Loop: Header=BB11_13 Depth=3
	v_add_nc_u32_e32 v10, 1, v10
	s_mov_b32 s31, -1
	s_and_b32 s30, s28, exec_lo
                                        ; implicit-def: $vgpr11
	s_delay_alu instid0(VALU_DEP_1)
	v_and_b32_e32 v10, 0x7fff, v10
; %bb.16:                               ;   in Loop: Header=BB11_13 Depth=3
	s_and_not1_saveexec_b32 s33, s2
	s_cbranch_execz .LBB11_11
; %bb.17:                               ;   in Loop: Header=BB11_13 Depth=3
	ds_cmpstore_rtn_b32 v11, v11, v3, v8
	s_and_not1_b32 s31, s31, exec_lo
	s_and_not1_b32 s30, s30, exec_lo
	s_waitcnt lgkmcnt(0)
	v_cmp_eq_u32_e32 vcc_lo, -1, v11
	v_cmp_ne_u32_e64 s2, -1, v11
	s_or_b32 s28, vcc_lo, s28
	s_delay_alu instid0(VALU_DEP_1)
	s_and_b32 s2, s2, exec_lo
	s_and_b32 s28, s28, exec_lo
	s_or_b32 s31, s31, s2
	s_or_b32 s30, s30, s28
	s_branch .LBB11_11
.LBB11_18:
	s_or_b32 exec_lo, exec_lo, s19
.LBB11_19:
	s_delay_alu instid0(SALU_CYCLE_1)
	s_or_b32 exec_lo, exec_lo, s3
.LBB11_20:
	s_load_b32 s0, s[0:1], 0x54
	s_waitcnt lgkmcnt(0)
	s_bfe_u32 s0, s0, 0x10008
	s_delay_alu instid0(SALU_CYCLE_1)
	s_cmp_eq_u32 s0, 0
	s_cbranch_scc1 .LBB11_34
; %bb.21:
	s_ashr_i32 s19, s18, 31
	v_subrev_nc_u32_e32 v1, s14, v4
	s_lshl_b64 s[0:1], s[18:19], 2
	s_delay_alu instid0(SALU_CYCLE_1)
	s_add_u32 s0, s8, s0
	s_addc_u32 s1, s9, s1
	s_load_b64 s[0:1], s[0:1], 0x0
	s_waitcnt lgkmcnt(0)
	v_add_nc_u32_e32 v1, s0, v1
	s_sub_i32 s2, s1, s14
	s_mov_b32 s1, exec_lo
	s_delay_alu instid0(VALU_DEP_1)
	v_cmpx_gt_i32_e64 s2, v1
	s_cbranch_execz .LBB11_33
; %bb.22:
	v_mov_b32_e32 v3, -1
	s_mov_b32 s3, 0
	s_branch .LBB11_24
.LBB11_23:                              ;   in Loop: Header=BB11_24 Depth=1
	s_or_b32 exec_lo, exec_lo, s5
	v_add_nc_u32_e32 v1, 32, v1
	v_cndmask_b32_e64 v2, 0, 1, s4
	s_delay_alu instid0(VALU_DEP_2) | instskip(NEXT) | instid1(VALU_DEP_2)
	v_cmp_le_i32_e32 vcc_lo, s2, v1
	v_add_nc_u32_e32 v6, v6, v2
	s_or_b32 s3, vcc_lo, s3
	s_delay_alu instid0(SALU_CYCLE_1)
	s_and_not1_b32 exec_lo, exec_lo, s3
	s_cbranch_execz .LBB11_32
.LBB11_24:                              ; =>This Loop Header: Depth=1
                                        ;     Child Loop BB11_27 Depth 2
	v_ashrrev_i32_e32 v2, 31, v1
	s_mov_b32 s5, 0
                                        ; implicit-def: $sgpr4
                                        ; implicit-def: $sgpr6
                                        ; implicit-def: $sgpr7
                                        ; implicit-def: $sgpr8
	s_delay_alu instid0(VALU_DEP_1) | instskip(NEXT) | instid1(VALU_DEP_1)
	v_lshlrev_b64 v[7:8], 2, v[1:2]
	v_add_co_u32 v7, vcc_lo, s10, v7
	s_delay_alu instid0(VALU_DEP_2) | instskip(SKIP_3) | instid1(VALU_DEP_1)
	v_add_co_ci_u32_e32 v8, vcc_lo, s11, v8, vcc_lo
	global_load_b32 v2, v[7:8], off
	s_waitcnt vmcnt(0)
	v_subrev_nc_u32_e32 v2, s14, v2
	v_mul_lo_u32 v7, 0x4f, v2
	s_delay_alu instid0(VALU_DEP_1)
	v_and_b32_e32 v7, 0x7fff, v7
	s_branch .LBB11_27
.LBB11_25:                              ;   in Loop: Header=BB11_27 Depth=2
	s_or_b32 exec_lo, exec_lo, s15
	s_delay_alu instid0(SALU_CYCLE_1)
	s_and_not1_b32 s0, s7, exec_lo
	s_and_b32 s7, s12, exec_lo
	s_and_not1_b32 s6, s6, exec_lo
	s_and_b32 s8, s13, exec_lo
	s_or_b32 s7, s0, s7
	s_or_b32 s6, s6, s8
                                        ; implicit-def: $sgpr8
.LBB11_26:                              ;   in Loop: Header=BB11_27 Depth=2
	s_or_b32 exec_lo, exec_lo, s9
	s_xor_b32 s0, s6, -1
	s_delay_alu instid0(SALU_CYCLE_1) | instskip(NEXT) | instid1(SALU_CYCLE_1)
	s_and_b32 s0, exec_lo, s0
	s_or_b32 s5, s0, s5
	s_and_not1_b32 s0, s8, exec_lo
	s_and_b32 s9, s7, exec_lo
	s_and_not1_b32 s4, s4, exec_lo
	s_or_b32 s8, s0, s9
	s_or_b32 s4, s4, s9
	s_and_not1_b32 exec_lo, exec_lo, s5
	s_cbranch_execz .LBB11_23
.LBB11_27:                              ;   Parent Loop BB11_24 Depth=1
                                        ; =>  This Inner Loop Header: Depth=2
	s_delay_alu instid0(VALU_DEP_1)
	v_lshl_add_u32 v8, v7, 2, 0
	s_and_not1_b32 s7, s7, exec_lo
	s_and_not1_b32 s6, s6, exec_lo
	s_mov_b32 s9, exec_lo
	ds_load_b32 v9, v8
	s_waitcnt lgkmcnt(0)
	v_cmpx_ne_u32_e64 v9, v2
	s_cbranch_execz .LBB11_26
; %bb.28:                               ;   in Loop: Header=BB11_27 Depth=2
	s_mov_b32 s0, exec_lo
                                        ; implicit-def: $sgpr12
                                        ; implicit-def: $sgpr13
	v_cmpx_ne_u32_e32 -1, v9
	s_xor_b32 s0, exec_lo, s0
; %bb.29:                               ;   in Loop: Header=BB11_27 Depth=2
	v_add_nc_u32_e32 v7, 1, v7
	s_mov_b32 s13, -1
	s_and_b32 s12, s8, exec_lo
                                        ; implicit-def: $vgpr8
	s_delay_alu instid0(VALU_DEP_1)
	v_and_b32_e32 v7, 0x7fff, v7
; %bb.30:                               ;   in Loop: Header=BB11_27 Depth=2
	s_and_not1_saveexec_b32 s15, s0
	s_cbranch_execz .LBB11_25
; %bb.31:                               ;   in Loop: Header=BB11_27 Depth=2
	ds_cmpstore_rtn_b32 v8, v8, v2, v3
	s_and_not1_b32 s13, s13, exec_lo
	s_and_not1_b32 s12, s12, exec_lo
	s_waitcnt lgkmcnt(0)
	v_cmp_eq_u32_e32 vcc_lo, -1, v8
	v_cmp_ne_u32_e64 s0, -1, v8
	s_or_b32 s8, vcc_lo, s8
	s_delay_alu instid0(VALU_DEP_1)
	s_and_b32 s0, s0, exec_lo
	s_and_b32 s8, s8, exec_lo
	s_or_b32 s13, s13, s0
	s_or_b32 s12, s12, s8
	s_branch .LBB11_25
.LBB11_32:
	s_or_b32 exec_lo, exec_lo, s3
.LBB11_33:
	s_delay_alu instid0(SALU_CYCLE_1)
	s_or_b32 exec_lo, exec_lo, s1
.LBB11_34:
	v_mbcnt_lo_u32_b32 v7, -1, 0
	s_mov_b32 s0, exec_lo
	s_barrier
	buffer_gl0_inv
	v_xor_b32_e32 v1, 16, v7
	v_xor_b32_e32 v2, 8, v7
	;; [unrolled: 1-line block ×3, first 2 shown]
	s_delay_alu instid0(VALU_DEP_3) | instskip(SKIP_1) | instid1(VALU_DEP_4)
	v_cmp_gt_i32_e32 vcc_lo, 32, v1
	v_cndmask_b32_e32 v1, v7, v1, vcc_lo
	v_cmp_gt_i32_e32 vcc_lo, 32, v2
	v_cndmask_b32_e32 v2, v7, v2, vcc_lo
	s_delay_alu instid0(VALU_DEP_1) | instskip(NEXT) | instid1(VALU_DEP_4)
	v_lshlrev_b32_e32 v2, 2, v2
	v_lshlrev_b32_e32 v1, 2, v1
	ds_bpermute_b32 v3, v1, v6
	s_waitcnt lgkmcnt(0)
	v_add_nc_u32_e32 v6, v3, v6
	v_xor_b32_e32 v3, 4, v7
	ds_bpermute_b32 v8, v2, v6
	v_cmp_gt_i32_e32 vcc_lo, 32, v3
	s_waitcnt lgkmcnt(0)
	v_dual_cndmask_b32 v3, v7, v3 :: v_dual_add_nc_u32 v8, v8, v6
	s_delay_alu instid0(VALU_DEP_1)
	v_lshlrev_b32_e32 v3, 2, v3
	v_xor_b32_e32 v6, 2, v7
	ds_bpermute_b32 v9, v3, v8
	v_cmp_gt_i32_e32 vcc_lo, 32, v6
	v_cndmask_b32_e32 v6, v7, v6, vcc_lo
	v_cmp_gt_i32_e32 vcc_lo, 32, v10
	s_delay_alu instid0(VALU_DEP_2) | instskip(SKIP_1) | instid1(VALU_DEP_1)
	v_lshlrev_b32_e32 v6, 2, v6
	v_cndmask_b32_e32 v7, v7, v10, vcc_lo
	v_lshlrev_b32_e32 v7, 2, v7
	s_waitcnt lgkmcnt(0)
	v_add_nc_u32_e32 v8, v9, v8
	ds_bpermute_b32 v9, v6, v8
	s_waitcnt lgkmcnt(0)
	v_add_nc_u32_e32 v8, v9, v8
	ds_bpermute_b32 v9, v7, v8
	v_cmpx_eq_u32_e32 31, v5
	s_cbranch_execz .LBB11_36
; %bb.35:
	v_lshl_add_u32 v4, v4, 2, 0
	s_waitcnt lgkmcnt(0)
	v_add_nc_u32_e32 v5, v9, v8
	ds_store_b32 v4, v5
.LBB11_36:
	s_or_b32 exec_lo, exec_lo, s0
	v_mov_b32_e32 v4, 0
	s_mov_b32 s0, exec_lo
	s_waitcnt lgkmcnt(0)
	s_barrier
	buffer_gl0_inv
	v_cmpx_gt_u32_e32 32, v0
	s_cbranch_execz .LBB11_38
; %bb.37:
	v_lshl_add_u32 v4, v0, 2, 0
	ds_load_b32 v4, v4
.LBB11_38:
	s_or_b32 exec_lo, exec_lo, s0
	s_waitcnt lgkmcnt(0)
	ds_bpermute_b32 v1, v1, v4
	s_mov_b32 s0, exec_lo
	s_waitcnt lgkmcnt(0)
	v_add_nc_u32_e32 v1, v1, v4
	ds_bpermute_b32 v2, v2, v1
	s_waitcnt lgkmcnt(0)
	v_add_nc_u32_e32 v1, v2, v1
	ds_bpermute_b32 v2, v3, v1
	s_waitcnt lgkmcnt(0)
	v_add_nc_u32_e32 v1, v2, v1
	ds_bpermute_b32 v2, v6, v1
	s_waitcnt lgkmcnt(0)
	v_add_nc_u32_e32 v1, v2, v1
	ds_bpermute_b32 v2, v7, v1
	v_cmpx_eq_u32_e32 31, v0
	s_cbranch_execz .LBB11_40
; %bb.39:
	s_ashr_i32 s19, s18, 31
	s_waitcnt lgkmcnt(0)
	v_dual_mov_b32 v0, 0 :: v_dual_add_nc_u32 v1, v2, v1
	s_lshl_b64 s[0:1], s[18:19], 2
	s_delay_alu instid0(SALU_CYCLE_1)
	s_add_u32 s0, s16, s0
	s_addc_u32 s1, s17, s1
	global_store_b32 v0, v1, s[0:1]
.LBB11_40:
	s_nop 0
	s_sendmsg sendmsg(MSG_DEALLOC_VGPRS)
	s_endpgm
	.section	.rodata,"a",@progbits
	.p2align	6, 0x0
	.amdhsa_kernel _ZN9rocsparseL25csrgemm_nnz_block_per_rowILj1024ELj32ELj32768ELj79EiiEEvPKT4_S3_PKT3_S3_S6_S3_S6_S3_PS4_21rocsparse_index_base_S8_S8_bb
		.amdhsa_group_segment_fixed_size 0
		.amdhsa_private_segment_fixed_size 0
		.amdhsa_kernarg_size 88
		.amdhsa_user_sgpr_count 15
		.amdhsa_user_sgpr_dispatch_ptr 0
		.amdhsa_user_sgpr_queue_ptr 0
		.amdhsa_user_sgpr_kernarg_segment_ptr 1
		.amdhsa_user_sgpr_dispatch_id 0
		.amdhsa_user_sgpr_private_segment_size 0
		.amdhsa_wavefront_size32 1
		.amdhsa_uses_dynamic_stack 0
		.amdhsa_enable_private_segment 0
		.amdhsa_system_sgpr_workgroup_id_x 1
		.amdhsa_system_sgpr_workgroup_id_y 0
		.amdhsa_system_sgpr_workgroup_id_z 0
		.amdhsa_system_sgpr_workgroup_info 0
		.amdhsa_system_vgpr_workitem_id 0
		.amdhsa_next_free_vgpr 13
		.amdhsa_next_free_sgpr 34
		.amdhsa_reserve_vcc 1
		.amdhsa_float_round_mode_32 0
		.amdhsa_float_round_mode_16_64 0
		.amdhsa_float_denorm_mode_32 3
		.amdhsa_float_denorm_mode_16_64 3
		.amdhsa_dx10_clamp 1
		.amdhsa_ieee_mode 1
		.amdhsa_fp16_overflow 0
		.amdhsa_workgroup_processor_mode 1
		.amdhsa_memory_ordered 1
		.amdhsa_forward_progress 0
		.amdhsa_shared_vgpr_count 0
		.amdhsa_exception_fp_ieee_invalid_op 0
		.amdhsa_exception_fp_denorm_src 0
		.amdhsa_exception_fp_ieee_div_zero 0
		.amdhsa_exception_fp_ieee_overflow 0
		.amdhsa_exception_fp_ieee_underflow 0
		.amdhsa_exception_fp_ieee_inexact 0
		.amdhsa_exception_int_div_zero 0
	.end_amdhsa_kernel
	.section	.text._ZN9rocsparseL25csrgemm_nnz_block_per_rowILj1024ELj32ELj32768ELj79EiiEEvPKT4_S3_PKT3_S3_S6_S3_S6_S3_PS4_21rocsparse_index_base_S8_S8_bb,"axG",@progbits,_ZN9rocsparseL25csrgemm_nnz_block_per_rowILj1024ELj32ELj32768ELj79EiiEEvPKT4_S3_PKT3_S3_S6_S3_S6_S3_PS4_21rocsparse_index_base_S8_S8_bb,comdat
.Lfunc_end11:
	.size	_ZN9rocsparseL25csrgemm_nnz_block_per_rowILj1024ELj32ELj32768ELj79EiiEEvPKT4_S3_PKT3_S3_S6_S3_S6_S3_PS4_21rocsparse_index_base_S8_S8_bb, .Lfunc_end11-_ZN9rocsparseL25csrgemm_nnz_block_per_rowILj1024ELj32ELj32768ELj79EiiEEvPKT4_S3_PKT3_S3_S6_S3_S6_S3_PS4_21rocsparse_index_base_S8_S8_bb
                                        ; -- End function
	.section	.AMDGPU.csdata,"",@progbits
; Kernel info:
; codeLenInByte = 1708
; NumSgprs: 36
; NumVgprs: 13
; ScratchSize: 0
; MemoryBound: 0
; FloatMode: 240
; IeeeMode: 1
; LDSByteSize: 0 bytes/workgroup (compile time only)
; SGPRBlocks: 4
; VGPRBlocks: 1
; NumSGPRsForWavesPerEU: 36
; NumVGPRsForWavesPerEU: 13
; Occupancy: 16
; WaveLimiterHint : 1
; COMPUTE_PGM_RSRC2:SCRATCH_EN: 0
; COMPUTE_PGM_RSRC2:USER_SGPR: 15
; COMPUTE_PGM_RSRC2:TRAP_HANDLER: 0
; COMPUTE_PGM_RSRC2:TGID_X_EN: 1
; COMPUTE_PGM_RSRC2:TGID_Y_EN: 0
; COMPUTE_PGM_RSRC2:TGID_Z_EN: 0
; COMPUTE_PGM_RSRC2:TIDIG_COMP_CNT: 0
	.section	.text._ZN9rocsparseL25csrgemm_nnz_block_per_rowILj1024ELj32ELj65536ELj79EiiEEvPKT4_S3_PKT3_S3_S6_S3_S6_S3_PS4_21rocsparse_index_base_S8_S8_bb,"axG",@progbits,_ZN9rocsparseL25csrgemm_nnz_block_per_rowILj1024ELj32ELj65536ELj79EiiEEvPKT4_S3_PKT3_S3_S6_S3_S6_S3_PS4_21rocsparse_index_base_S8_S8_bb,comdat
	.globl	_ZN9rocsparseL25csrgemm_nnz_block_per_rowILj1024ELj32ELj65536ELj79EiiEEvPKT4_S3_PKT3_S3_S6_S3_S6_S3_PS4_21rocsparse_index_base_S8_S8_bb ; -- Begin function _ZN9rocsparseL25csrgemm_nnz_block_per_rowILj1024ELj32ELj65536ELj79EiiEEvPKT4_S3_PKT3_S3_S6_S3_S6_S3_PS4_21rocsparse_index_base_S8_S8_bb
	.p2align	8
	.type	_ZN9rocsparseL25csrgemm_nnz_block_per_rowILj1024ELj32ELj65536ELj79EiiEEvPKT4_S3_PKT3_S3_S6_S3_S6_S3_PS4_21rocsparse_index_base_S8_S8_bb,@function
_ZN9rocsparseL25csrgemm_nnz_block_per_rowILj1024ELj32ELj65536ELj79EiiEEvPKT4_S3_PKT3_S3_S6_S3_S6_S3_PS4_21rocsparse_index_base_S8_S8_bb: ; @_ZN9rocsparseL25csrgemm_nnz_block_per_rowILj1024ELj32ELj65536ELj79EiiEEvPKT4_S3_PKT3_S3_S6_S3_S6_S3_PS4_21rocsparse_index_base_S8_S8_bb
; %bb.0:
	s_load_b256 s[16:23], s[0:1], 0x0
	s_mov_b32 s3, 0
	v_or_b32_e32 v1, 0xfffffc00, v0
	v_lshl_add_u32 v2, v0, 2, 0
	v_mov_b32_e32 v3, -1
	s_waitcnt lgkmcnt(0)
	s_load_b32 s2, s[16:17], 0x0
	s_load_b64 s[16:17], s[0:1], 0x40
	s_waitcnt lgkmcnt(0)
	s_add_i32 s2, s2, s15
	s_delay_alu instid0(SALU_CYCLE_1) | instskip(NEXT) | instid1(SALU_CYCLE_1)
	s_lshl_b64 s[4:5], s[2:3], 2
	s_add_u32 s12, s18, s4
	s_addc_u32 s13, s19, s5
	s_load_b256 s[4:11], s[0:1], 0x20
	s_load_b32 s18, s[12:13], 0x0
.LBB12_1:                               ; =>This Inner Loop Header: Depth=1
	v_add_nc_u32_e32 v1, 0x400, v1
	ds_store_b32 v2, v3
	v_add_nc_u32_e32 v2, 0x1000, v2
	v_cmp_lt_u32_e32 vcc_lo, 0xfbff, v1
	s_or_b32 s3, vcc_lo, s3
	s_delay_alu instid0(SALU_CYCLE_1)
	s_and_not1_b32 exec_lo, exec_lo, s3
	s_cbranch_execnz .LBB12_1
; %bb.2:
	s_or_b32 exec_lo, exec_lo, s3
	s_load_b128 s[12:15], s[0:1], 0x48
	v_dual_mov_b32 v6, 0 :: v_dual_and_b32 v5, 31, v0
	v_lshrrev_b32_e32 v4, 5, v0
	s_waitcnt lgkmcnt(0)
	s_barrier
	buffer_gl0_inv
	s_bitcmp1_b32 s15, 0
	s_cselect_b32 s2, -1, 0
	s_delay_alu instid0(SALU_CYCLE_1)
	s_and_b32 vcc_lo, exec_lo, s2
	s_cbranch_vccz .LBB12_20
; %bb.3:
	s_ashr_i32 s19, s18, 31
	v_subrev_nc_u32_e32 v1, s12, v4
	s_lshl_b64 s[2:3], s[18:19], 2
	v_mov_b32_e32 v6, 0
	s_add_u32 s2, s20, s2
	s_addc_u32 s3, s21, s3
	s_load_b64 s[2:3], s[2:3], 0x0
	s_waitcnt lgkmcnt(0)
	v_add_nc_u32_e32 v1, s2, v1
	s_sub_i32 s15, s3, s12
	s_mov_b32 s3, exec_lo
	s_delay_alu instid0(VALU_DEP_1)
	v_cmpx_gt_i32_e64 s15, v1
	s_cbranch_execz .LBB12_19
; %bb.4:
	v_subrev_nc_u32_e32 v7, s13, v5
	v_mov_b32_e32 v6, 0
	v_mov_b32_e32 v8, -1
	s_mov_b32 s19, 0
	s_branch .LBB12_7
.LBB12_5:                               ;   in Loop: Header=BB12_7 Depth=1
	s_or_b32 exec_lo, exec_lo, s21
.LBB12_6:                               ;   in Loop: Header=BB12_7 Depth=1
	s_delay_alu instid0(SALU_CYCLE_1) | instskip(SKIP_1) | instid1(VALU_DEP_1)
	s_or_b32 exec_lo, exec_lo, s20
	v_add_nc_u32_e32 v1, 32, v1
	v_cmp_le_i32_e32 vcc_lo, s15, v1
	s_or_b32 s19, vcc_lo, s19
	s_delay_alu instid0(SALU_CYCLE_1)
	s_and_not1_b32 exec_lo, exec_lo, s19
	s_cbranch_execz .LBB12_18
.LBB12_7:                               ; =>This Loop Header: Depth=1
                                        ;     Child Loop BB12_10 Depth 2
                                        ;       Child Loop BB12_13 Depth 3
	v_ashrrev_i32_e32 v2, 31, v1
	s_mov_b32 s20, exec_lo
	s_delay_alu instid0(VALU_DEP_1) | instskip(NEXT) | instid1(VALU_DEP_1)
	v_lshlrev_b64 v[2:3], 2, v[1:2]
	v_add_co_u32 v2, vcc_lo, s22, v2
	s_delay_alu instid0(VALU_DEP_2) | instskip(SKIP_3) | instid1(VALU_DEP_1)
	v_add_co_ci_u32_e32 v3, vcc_lo, s23, v3, vcc_lo
	global_load_b32 v2, v[2:3], off
	s_waitcnt vmcnt(0)
	v_subrev_nc_u32_e32 v2, s12, v2
	v_ashrrev_i32_e32 v3, 31, v2
	s_delay_alu instid0(VALU_DEP_1) | instskip(NEXT) | instid1(VALU_DEP_1)
	v_lshlrev_b64 v[2:3], 2, v[2:3]
	v_add_co_u32 v2, vcc_lo, s4, v2
	s_delay_alu instid0(VALU_DEP_2) | instskip(SKIP_4) | instid1(VALU_DEP_1)
	v_add_co_ci_u32_e32 v3, vcc_lo, s5, v3, vcc_lo
	global_load_b64 v[2:3], v[2:3], off
	s_waitcnt vmcnt(0)
	v_subrev_nc_u32_e32 v9, s13, v3
	v_add_nc_u32_e32 v2, v7, v2
	v_cmpx_lt_i32_e64 v2, v9
	s_cbranch_execz .LBB12_6
; %bb.8:                                ;   in Loop: Header=BB12_7 Depth=1
	s_mov_b32 s21, 0
	s_branch .LBB12_10
.LBB12_9:                               ;   in Loop: Header=BB12_10 Depth=2
	s_or_b32 exec_lo, exec_lo, s25
	v_add_nc_u32_e32 v2, 32, v2
	v_cndmask_b32_e64 v3, 0, 1, s24
	s_delay_alu instid0(VALU_DEP_2) | instskip(NEXT) | instid1(VALU_DEP_2)
	v_cmp_ge_i32_e32 vcc_lo, v2, v9
	v_add_nc_u32_e32 v6, v6, v3
	s_or_b32 s21, vcc_lo, s21
	s_delay_alu instid0(SALU_CYCLE_1)
	s_and_not1_b32 exec_lo, exec_lo, s21
	s_cbranch_execz .LBB12_5
.LBB12_10:                              ;   Parent Loop BB12_7 Depth=1
                                        ; =>  This Loop Header: Depth=2
                                        ;       Child Loop BB12_13 Depth 3
	v_ashrrev_i32_e32 v3, 31, v2
	s_mov_b32 s25, 0
                                        ; implicit-def: $sgpr24
                                        ; implicit-def: $sgpr26
                                        ; implicit-def: $sgpr27
                                        ; implicit-def: $sgpr28
	s_delay_alu instid0(VALU_DEP_1) | instskip(NEXT) | instid1(VALU_DEP_1)
	v_lshlrev_b64 v[10:11], 2, v[2:3]
	v_add_co_u32 v10, vcc_lo, s6, v10
	s_delay_alu instid0(VALU_DEP_2) | instskip(SKIP_3) | instid1(VALU_DEP_1)
	v_add_co_ci_u32_e32 v11, vcc_lo, s7, v11, vcc_lo
	global_load_b32 v3, v[10:11], off
	s_waitcnt vmcnt(0)
	v_subrev_nc_u32_e32 v3, s13, v3
	v_mul_lo_u32 v10, 0x4f, v3
	s_delay_alu instid0(VALU_DEP_1)
	v_and_b32_e32 v10, 0xffff, v10
	s_branch .LBB12_13
.LBB12_11:                              ;   in Loop: Header=BB12_13 Depth=3
	s_or_b32 exec_lo, exec_lo, s33
	s_delay_alu instid0(SALU_CYCLE_1)
	s_and_not1_b32 s2, s27, exec_lo
	s_and_b32 s27, s30, exec_lo
	s_and_not1_b32 s26, s26, exec_lo
	s_and_b32 s28, s31, exec_lo
	s_or_b32 s27, s2, s27
	s_or_b32 s26, s26, s28
                                        ; implicit-def: $sgpr28
.LBB12_12:                              ;   in Loop: Header=BB12_13 Depth=3
	s_or_b32 exec_lo, exec_lo, s29
	s_xor_b32 s2, s26, -1
	s_delay_alu instid0(SALU_CYCLE_1) | instskip(NEXT) | instid1(SALU_CYCLE_1)
	s_and_b32 s2, exec_lo, s2
	s_or_b32 s25, s2, s25
	s_and_not1_b32 s2, s28, exec_lo
	s_and_b32 s29, s27, exec_lo
	s_and_not1_b32 s24, s24, exec_lo
	s_or_b32 s28, s2, s29
	s_or_b32 s24, s24, s29
	s_and_not1_b32 exec_lo, exec_lo, s25
	s_cbranch_execz .LBB12_9
.LBB12_13:                              ;   Parent Loop BB12_7 Depth=1
                                        ;     Parent Loop BB12_10 Depth=2
                                        ; =>    This Inner Loop Header: Depth=3
	s_delay_alu instid0(VALU_DEP_1)
	v_lshl_add_u32 v11, v10, 2, 0
	s_and_not1_b32 s27, s27, exec_lo
	s_and_not1_b32 s26, s26, exec_lo
	s_mov_b32 s29, exec_lo
	ds_load_b32 v12, v11
	s_waitcnt lgkmcnt(0)
	v_cmpx_ne_u32_e64 v12, v3
	s_cbranch_execz .LBB12_12
; %bb.14:                               ;   in Loop: Header=BB12_13 Depth=3
	s_mov_b32 s2, exec_lo
                                        ; implicit-def: $sgpr30
                                        ; implicit-def: $sgpr31
	v_cmpx_ne_u32_e32 -1, v12
	s_xor_b32 s2, exec_lo, s2
; %bb.15:                               ;   in Loop: Header=BB12_13 Depth=3
	v_add_nc_u32_e32 v10, 1, v10
	s_mov_b32 s31, -1
	s_and_b32 s30, s28, exec_lo
                                        ; implicit-def: $vgpr11
	s_delay_alu instid0(VALU_DEP_1)
	v_and_b32_e32 v10, 0xffff, v10
; %bb.16:                               ;   in Loop: Header=BB12_13 Depth=3
	s_and_not1_saveexec_b32 s33, s2
	s_cbranch_execz .LBB12_11
; %bb.17:                               ;   in Loop: Header=BB12_13 Depth=3
	ds_cmpstore_rtn_b32 v11, v11, v3, v8
	s_and_not1_b32 s31, s31, exec_lo
	s_and_not1_b32 s30, s30, exec_lo
	s_waitcnt lgkmcnt(0)
	v_cmp_eq_u32_e32 vcc_lo, -1, v11
	v_cmp_ne_u32_e64 s2, -1, v11
	s_or_b32 s28, vcc_lo, s28
	s_delay_alu instid0(VALU_DEP_1)
	s_and_b32 s2, s2, exec_lo
	s_and_b32 s28, s28, exec_lo
	s_or_b32 s31, s31, s2
	s_or_b32 s30, s30, s28
	s_branch .LBB12_11
.LBB12_18:
	s_or_b32 exec_lo, exec_lo, s19
.LBB12_19:
	s_delay_alu instid0(SALU_CYCLE_1)
	s_or_b32 exec_lo, exec_lo, s3
.LBB12_20:
	s_load_b32 s0, s[0:1], 0x54
	s_waitcnt lgkmcnt(0)
	s_bfe_u32 s0, s0, 0x10008
	s_delay_alu instid0(SALU_CYCLE_1)
	s_cmp_eq_u32 s0, 0
	s_cbranch_scc1 .LBB12_34
; %bb.21:
	s_ashr_i32 s19, s18, 31
	v_subrev_nc_u32_e32 v1, s14, v4
	s_lshl_b64 s[0:1], s[18:19], 2
	s_delay_alu instid0(SALU_CYCLE_1)
	s_add_u32 s0, s8, s0
	s_addc_u32 s1, s9, s1
	s_load_b64 s[0:1], s[0:1], 0x0
	s_waitcnt lgkmcnt(0)
	v_add_nc_u32_e32 v1, s0, v1
	s_sub_i32 s2, s1, s14
	s_mov_b32 s1, exec_lo
	s_delay_alu instid0(VALU_DEP_1)
	v_cmpx_gt_i32_e64 s2, v1
	s_cbranch_execz .LBB12_33
; %bb.22:
	v_mov_b32_e32 v3, -1
	s_mov_b32 s3, 0
	s_branch .LBB12_24
.LBB12_23:                              ;   in Loop: Header=BB12_24 Depth=1
	s_or_b32 exec_lo, exec_lo, s5
	v_add_nc_u32_e32 v1, 32, v1
	v_cndmask_b32_e64 v2, 0, 1, s4
	s_delay_alu instid0(VALU_DEP_2) | instskip(NEXT) | instid1(VALU_DEP_2)
	v_cmp_le_i32_e32 vcc_lo, s2, v1
	v_add_nc_u32_e32 v6, v6, v2
	s_or_b32 s3, vcc_lo, s3
	s_delay_alu instid0(SALU_CYCLE_1)
	s_and_not1_b32 exec_lo, exec_lo, s3
	s_cbranch_execz .LBB12_32
.LBB12_24:                              ; =>This Loop Header: Depth=1
                                        ;     Child Loop BB12_27 Depth 2
	v_ashrrev_i32_e32 v2, 31, v1
	s_mov_b32 s5, 0
                                        ; implicit-def: $sgpr4
                                        ; implicit-def: $sgpr6
                                        ; implicit-def: $sgpr7
                                        ; implicit-def: $sgpr8
	s_delay_alu instid0(VALU_DEP_1) | instskip(NEXT) | instid1(VALU_DEP_1)
	v_lshlrev_b64 v[7:8], 2, v[1:2]
	v_add_co_u32 v7, vcc_lo, s10, v7
	s_delay_alu instid0(VALU_DEP_2) | instskip(SKIP_3) | instid1(VALU_DEP_1)
	v_add_co_ci_u32_e32 v8, vcc_lo, s11, v8, vcc_lo
	global_load_b32 v2, v[7:8], off
	s_waitcnt vmcnt(0)
	v_subrev_nc_u32_e32 v2, s14, v2
	v_mul_lo_u32 v7, 0x4f, v2
	s_delay_alu instid0(VALU_DEP_1)
	v_and_b32_e32 v7, 0xffff, v7
	s_branch .LBB12_27
.LBB12_25:                              ;   in Loop: Header=BB12_27 Depth=2
	s_or_b32 exec_lo, exec_lo, s15
	s_delay_alu instid0(SALU_CYCLE_1)
	s_and_not1_b32 s0, s7, exec_lo
	s_and_b32 s7, s12, exec_lo
	s_and_not1_b32 s6, s6, exec_lo
	s_and_b32 s8, s13, exec_lo
	s_or_b32 s7, s0, s7
	s_or_b32 s6, s6, s8
                                        ; implicit-def: $sgpr8
.LBB12_26:                              ;   in Loop: Header=BB12_27 Depth=2
	s_or_b32 exec_lo, exec_lo, s9
	s_xor_b32 s0, s6, -1
	s_delay_alu instid0(SALU_CYCLE_1) | instskip(NEXT) | instid1(SALU_CYCLE_1)
	s_and_b32 s0, exec_lo, s0
	s_or_b32 s5, s0, s5
	s_and_not1_b32 s0, s8, exec_lo
	s_and_b32 s9, s7, exec_lo
	s_and_not1_b32 s4, s4, exec_lo
	s_or_b32 s8, s0, s9
	s_or_b32 s4, s4, s9
	s_and_not1_b32 exec_lo, exec_lo, s5
	s_cbranch_execz .LBB12_23
.LBB12_27:                              ;   Parent Loop BB12_24 Depth=1
                                        ; =>  This Inner Loop Header: Depth=2
	s_delay_alu instid0(VALU_DEP_1)
	v_lshl_add_u32 v8, v7, 2, 0
	s_and_not1_b32 s7, s7, exec_lo
	s_and_not1_b32 s6, s6, exec_lo
	s_mov_b32 s9, exec_lo
	ds_load_b32 v9, v8
	s_waitcnt lgkmcnt(0)
	v_cmpx_ne_u32_e64 v9, v2
	s_cbranch_execz .LBB12_26
; %bb.28:                               ;   in Loop: Header=BB12_27 Depth=2
	s_mov_b32 s0, exec_lo
                                        ; implicit-def: $sgpr12
                                        ; implicit-def: $sgpr13
	v_cmpx_ne_u32_e32 -1, v9
	s_xor_b32 s0, exec_lo, s0
; %bb.29:                               ;   in Loop: Header=BB12_27 Depth=2
	v_add_nc_u32_e32 v7, 1, v7
	s_mov_b32 s13, -1
	s_and_b32 s12, s8, exec_lo
                                        ; implicit-def: $vgpr8
	s_delay_alu instid0(VALU_DEP_1)
	v_and_b32_e32 v7, 0xffff, v7
; %bb.30:                               ;   in Loop: Header=BB12_27 Depth=2
	s_and_not1_saveexec_b32 s15, s0
	s_cbranch_execz .LBB12_25
; %bb.31:                               ;   in Loop: Header=BB12_27 Depth=2
	ds_cmpstore_rtn_b32 v8, v8, v2, v3
	s_and_not1_b32 s13, s13, exec_lo
	s_and_not1_b32 s12, s12, exec_lo
	s_waitcnt lgkmcnt(0)
	v_cmp_eq_u32_e32 vcc_lo, -1, v8
	v_cmp_ne_u32_e64 s0, -1, v8
	s_or_b32 s8, vcc_lo, s8
	s_delay_alu instid0(VALU_DEP_1)
	s_and_b32 s0, s0, exec_lo
	s_and_b32 s8, s8, exec_lo
	s_or_b32 s13, s13, s0
	s_or_b32 s12, s12, s8
	s_branch .LBB12_25
.LBB12_32:
	s_or_b32 exec_lo, exec_lo, s3
.LBB12_33:
	s_delay_alu instid0(SALU_CYCLE_1)
	s_or_b32 exec_lo, exec_lo, s1
.LBB12_34:
	v_mbcnt_lo_u32_b32 v7, -1, 0
	s_mov_b32 s0, exec_lo
	s_barrier
	buffer_gl0_inv
	v_xor_b32_e32 v1, 16, v7
	v_xor_b32_e32 v2, 8, v7
	;; [unrolled: 1-line block ×3, first 2 shown]
	s_delay_alu instid0(VALU_DEP_3) | instskip(SKIP_1) | instid1(VALU_DEP_4)
	v_cmp_gt_i32_e32 vcc_lo, 32, v1
	v_cndmask_b32_e32 v1, v7, v1, vcc_lo
	v_cmp_gt_i32_e32 vcc_lo, 32, v2
	v_cndmask_b32_e32 v2, v7, v2, vcc_lo
	s_delay_alu instid0(VALU_DEP_1) | instskip(NEXT) | instid1(VALU_DEP_4)
	v_lshlrev_b32_e32 v2, 2, v2
	v_lshlrev_b32_e32 v1, 2, v1
	ds_bpermute_b32 v3, v1, v6
	s_waitcnt lgkmcnt(0)
	v_add_nc_u32_e32 v6, v3, v6
	v_xor_b32_e32 v3, 4, v7
	ds_bpermute_b32 v8, v2, v6
	v_cmp_gt_i32_e32 vcc_lo, 32, v3
	s_waitcnt lgkmcnt(0)
	v_dual_cndmask_b32 v3, v7, v3 :: v_dual_add_nc_u32 v8, v8, v6
	s_delay_alu instid0(VALU_DEP_1)
	v_lshlrev_b32_e32 v3, 2, v3
	v_xor_b32_e32 v6, 2, v7
	ds_bpermute_b32 v9, v3, v8
	v_cmp_gt_i32_e32 vcc_lo, 32, v6
	v_cndmask_b32_e32 v6, v7, v6, vcc_lo
	v_cmp_gt_i32_e32 vcc_lo, 32, v10
	s_delay_alu instid0(VALU_DEP_2) | instskip(SKIP_1) | instid1(VALU_DEP_1)
	v_lshlrev_b32_e32 v6, 2, v6
	v_cndmask_b32_e32 v7, v7, v10, vcc_lo
	v_lshlrev_b32_e32 v7, 2, v7
	s_waitcnt lgkmcnt(0)
	v_add_nc_u32_e32 v8, v9, v8
	ds_bpermute_b32 v9, v6, v8
	s_waitcnt lgkmcnt(0)
	v_add_nc_u32_e32 v8, v9, v8
	ds_bpermute_b32 v9, v7, v8
	v_cmpx_eq_u32_e32 31, v5
	s_cbranch_execz .LBB12_36
; %bb.35:
	v_lshl_add_u32 v4, v4, 2, 0
	s_waitcnt lgkmcnt(0)
	v_add_nc_u32_e32 v5, v9, v8
	ds_store_b32 v4, v5
.LBB12_36:
	s_or_b32 exec_lo, exec_lo, s0
	v_mov_b32_e32 v4, 0
	s_mov_b32 s0, exec_lo
	s_waitcnt lgkmcnt(0)
	s_barrier
	buffer_gl0_inv
	v_cmpx_gt_u32_e32 32, v0
	s_cbranch_execz .LBB12_38
; %bb.37:
	v_lshl_add_u32 v4, v0, 2, 0
	ds_load_b32 v4, v4
.LBB12_38:
	s_or_b32 exec_lo, exec_lo, s0
	s_waitcnt lgkmcnt(0)
	ds_bpermute_b32 v1, v1, v4
	s_mov_b32 s0, exec_lo
	s_waitcnt lgkmcnt(0)
	v_add_nc_u32_e32 v1, v1, v4
	ds_bpermute_b32 v2, v2, v1
	s_waitcnt lgkmcnt(0)
	v_add_nc_u32_e32 v1, v2, v1
	ds_bpermute_b32 v2, v3, v1
	s_waitcnt lgkmcnt(0)
	v_add_nc_u32_e32 v1, v2, v1
	ds_bpermute_b32 v2, v6, v1
	s_waitcnt lgkmcnt(0)
	v_add_nc_u32_e32 v1, v2, v1
	ds_bpermute_b32 v2, v7, v1
	v_cmpx_eq_u32_e32 31, v0
	s_cbranch_execz .LBB12_40
; %bb.39:
	s_ashr_i32 s19, s18, 31
	s_waitcnt lgkmcnt(0)
	v_dual_mov_b32 v0, 0 :: v_dual_add_nc_u32 v1, v2, v1
	s_lshl_b64 s[0:1], s[18:19], 2
	s_delay_alu instid0(SALU_CYCLE_1)
	s_add_u32 s0, s16, s0
	s_addc_u32 s1, s17, s1
	global_store_b32 v0, v1, s[0:1]
.LBB12_40:
	s_nop 0
	s_sendmsg sendmsg(MSG_DEALLOC_VGPRS)
	s_endpgm
	.section	.rodata,"a",@progbits
	.p2align	6, 0x0
	.amdhsa_kernel _ZN9rocsparseL25csrgemm_nnz_block_per_rowILj1024ELj32ELj65536ELj79EiiEEvPKT4_S3_PKT3_S3_S6_S3_S6_S3_PS4_21rocsparse_index_base_S8_S8_bb
		.amdhsa_group_segment_fixed_size 0
		.amdhsa_private_segment_fixed_size 0
		.amdhsa_kernarg_size 88
		.amdhsa_user_sgpr_count 15
		.amdhsa_user_sgpr_dispatch_ptr 0
		.amdhsa_user_sgpr_queue_ptr 0
		.amdhsa_user_sgpr_kernarg_segment_ptr 1
		.amdhsa_user_sgpr_dispatch_id 0
		.amdhsa_user_sgpr_private_segment_size 0
		.amdhsa_wavefront_size32 1
		.amdhsa_uses_dynamic_stack 0
		.amdhsa_enable_private_segment 0
		.amdhsa_system_sgpr_workgroup_id_x 1
		.amdhsa_system_sgpr_workgroup_id_y 0
		.amdhsa_system_sgpr_workgroup_id_z 0
		.amdhsa_system_sgpr_workgroup_info 0
		.amdhsa_system_vgpr_workitem_id 0
		.amdhsa_next_free_vgpr 13
		.amdhsa_next_free_sgpr 34
		.amdhsa_reserve_vcc 1
		.amdhsa_float_round_mode_32 0
		.amdhsa_float_round_mode_16_64 0
		.amdhsa_float_denorm_mode_32 3
		.amdhsa_float_denorm_mode_16_64 3
		.amdhsa_dx10_clamp 1
		.amdhsa_ieee_mode 1
		.amdhsa_fp16_overflow 0
		.amdhsa_workgroup_processor_mode 1
		.amdhsa_memory_ordered 1
		.amdhsa_forward_progress 0
		.amdhsa_shared_vgpr_count 0
		.amdhsa_exception_fp_ieee_invalid_op 0
		.amdhsa_exception_fp_denorm_src 0
		.amdhsa_exception_fp_ieee_div_zero 0
		.amdhsa_exception_fp_ieee_overflow 0
		.amdhsa_exception_fp_ieee_underflow 0
		.amdhsa_exception_fp_ieee_inexact 0
		.amdhsa_exception_int_div_zero 0
	.end_amdhsa_kernel
	.section	.text._ZN9rocsparseL25csrgemm_nnz_block_per_rowILj1024ELj32ELj65536ELj79EiiEEvPKT4_S3_PKT3_S3_S6_S3_S6_S3_PS4_21rocsparse_index_base_S8_S8_bb,"axG",@progbits,_ZN9rocsparseL25csrgemm_nnz_block_per_rowILj1024ELj32ELj65536ELj79EiiEEvPKT4_S3_PKT3_S3_S6_S3_S6_S3_PS4_21rocsparse_index_base_S8_S8_bb,comdat
.Lfunc_end12:
	.size	_ZN9rocsparseL25csrgemm_nnz_block_per_rowILj1024ELj32ELj65536ELj79EiiEEvPKT4_S3_PKT3_S3_S6_S3_S6_S3_PS4_21rocsparse_index_base_S8_S8_bb, .Lfunc_end12-_ZN9rocsparseL25csrgemm_nnz_block_per_rowILj1024ELj32ELj65536ELj79EiiEEvPKT4_S3_PKT3_S3_S6_S3_S6_S3_PS4_21rocsparse_index_base_S8_S8_bb
                                        ; -- End function
	.section	.AMDGPU.csdata,"",@progbits
; Kernel info:
; codeLenInByte = 1708
; NumSgprs: 36
; NumVgprs: 13
; ScratchSize: 0
; MemoryBound: 0
; FloatMode: 240
; IeeeMode: 1
; LDSByteSize: 0 bytes/workgroup (compile time only)
; SGPRBlocks: 4
; VGPRBlocks: 1
; NumSGPRsForWavesPerEU: 36
; NumVGPRsForWavesPerEU: 13
; Occupancy: 16
; WaveLimiterHint : 1
; COMPUTE_PGM_RSRC2:SCRATCH_EN: 0
; COMPUTE_PGM_RSRC2:USER_SGPR: 15
; COMPUTE_PGM_RSRC2:TRAP_HANDLER: 0
; COMPUTE_PGM_RSRC2:TGID_X_EN: 1
; COMPUTE_PGM_RSRC2:TGID_Y_EN: 0
; COMPUTE_PGM_RSRC2:TGID_Z_EN: 0
; COMPUTE_PGM_RSRC2:TIDIG_COMP_CNT: 0
	.section	.text._ZN9rocsparseL35csrgemm_nnz_block_per_row_multipassILj512ELj16ELj2048EiiEEvT3_PKS1_S3_PKT2_S3_S6_S3_S6_S3_PS4_S7_21rocsparse_index_base_S8_S8_bb,"axG",@progbits,_ZN9rocsparseL35csrgemm_nnz_block_per_row_multipassILj512ELj16ELj2048EiiEEvT3_PKS1_S3_PKT2_S3_S6_S3_S6_S3_PS4_S7_21rocsparse_index_base_S8_S8_bb,comdat
	.globl	_ZN9rocsparseL35csrgemm_nnz_block_per_row_multipassILj512ELj16ELj2048EiiEEvT3_PKS1_S3_PKT2_S3_S6_S3_S6_S3_PS4_S7_21rocsparse_index_base_S8_S8_bb ; -- Begin function _ZN9rocsparseL35csrgemm_nnz_block_per_row_multipassILj512ELj16ELj2048EiiEEvT3_PKS1_S3_PKT2_S3_S6_S3_S6_S3_PS4_S7_21rocsparse_index_base_S8_S8_bb
	.p2align	8
	.type	_ZN9rocsparseL35csrgemm_nnz_block_per_row_multipassILj512ELj16ELj2048EiiEEvT3_PKS1_S3_PKT2_S3_S6_S3_S6_S3_PS4_S7_21rocsparse_index_base_S8_S8_bb,@function
_ZN9rocsparseL35csrgemm_nnz_block_per_row_multipassILj512ELj16ELj2048EiiEEvT3_PKS1_S3_PKT2_S3_S6_S3_S6_S3_PS4_S7_21rocsparse_index_base_S8_S8_bb: ; @_ZN9rocsparseL35csrgemm_nnz_block_per_row_multipassILj512ELj16ELj2048EiiEEvT3_PKS1_S3_PKT2_S3_S6_S3_S6_S3_PS4_S7_21rocsparse_index_base_S8_S8_bb
; %bb.0:
	s_clause 0x1
	s_load_b128 s[8:11], s[0:1], 0x8
	s_load_b64 s[4:5], s[0:1], 0x18
	s_mov_b32 s3, 0
	s_waitcnt lgkmcnt(0)
	s_load_b32 s2, s[8:9], 0x0
	s_waitcnt lgkmcnt(0)
	s_add_i32 s2, s2, s15
	s_delay_alu instid0(SALU_CYCLE_1) | instskip(SKIP_3) | instid1(VALU_DEP_1)
	s_lshl_b64 s[6:7], s[2:3], 2
	v_cmp_eq_u32_e64 s2, 0, v0
	s_add_u32 s6, s10, s6
	s_addc_u32 s7, s11, s7
	s_and_saveexec_b32 s8, s2
	s_cbranch_execz .LBB13_2
; %bb.1:
	v_mov_b32_e32 v1, 0
	ds_store_b32 v1, v1 offset:2052
.LBB13_2:
	s_or_b32 exec_lo, exec_lo, s8
	s_load_b128 s[16:19], s[0:1], 0x58
	s_load_b32 s20, s[6:7], 0x0
	s_waitcnt lgkmcnt(0)
	s_bitcmp1_b32 s19, 0
	s_cselect_b32 s6, -1, 0
	s_bitcmp0_b32 s19, 0
	s_cbranch_scc0 .LBB13_5
; %bb.3:
	s_and_not1_b32 vcc_lo, exec_lo, s6
	s_mov_b32 s7, 0
	s_cbranch_vccz .LBB13_6
.LBB13_4:
	s_load_b32 s19, s[0:1], 0x0
	s_waitcnt lgkmcnt(0)
	s_cmp_lt_i32 s19, 1
	s_cbranch_scc0 .LBB13_7
	s_branch .LBB13_67
.LBB13_5:
	s_ashr_i32 s21, s20, 31
	s_delay_alu instid0(SALU_CYCLE_1) | instskip(NEXT) | instid1(SALU_CYCLE_1)
	s_lshl_b64 s[8:9], s[20:21], 2
	s_add_u32 s8, s4, s8
	s_addc_u32 s9, s5, s9
	s_load_b32 s3, s[8:9], 0x0
	s_waitcnt lgkmcnt(0)
	s_sub_i32 s3, s3, s16
	s_and_not1_b32 vcc_lo, exec_lo, s6
	s_mov_b32 s7, 0
	s_cbranch_vccnz .LBB13_4
.LBB13_6:
	s_ashr_i32 s21, s20, 31
	s_delay_alu instid0(SALU_CYCLE_1) | instskip(NEXT) | instid1(SALU_CYCLE_1)
	s_lshl_b64 s[8:9], s[20:21], 2
	s_add_u32 s4, s4, s8
	s_addc_u32 s5, s5, s9
	s_load_b32 s4, s[4:5], 0x4
	s_waitcnt lgkmcnt(0)
	s_sub_i32 s7, s4, s16
	s_load_b32 s19, s[0:1], 0x0
	s_waitcnt lgkmcnt(0)
	s_cmp_lt_i32 s19, 1
	s_cbranch_scc1 .LBB13_67
.LBB13_7:
	v_lshrrev_b32_e32 v1, 4, v0
	v_mbcnt_lo_u32_b32 v2, -1, 0
	s_clause 0x3
	s_load_b32 s5, s[0:1], 0x64
	s_load_b256 s[8:15], s[0:1], 0x20
	s_load_b64 s[22:23], s[0:1], 0x50
	s_load_b64 s[24:25], s[0:1], 0x40
	v_dual_mov_b32 v15, 0 :: v_dual_and_b32 v6, 15, v0
	v_dual_mov_b32 v14, 0 :: v_dual_add_nc_u32 v7, s3, v1
	v_xor_b32_e32 v1, 8, v2
	v_xor_b32_e32 v3, 4, v2
	;; [unrolled: 1-line block ×4, first 2 shown]
	v_cmp_gt_i32_e32 vcc_lo, s7, v7
	v_cmp_gt_i32_e64 s4, 32, v1
	v_cmp_eq_u32_e64 s3, 15, v6
	v_subrev_nc_u32_e32 v8, s18, v0
	v_or_b32_e32 v13, 0xfffffe00, v0
	v_mov_b32_e32 v18, 0x800
	v_cndmask_b32_e64 v1, v2, v1, s4
	v_cmp_gt_i32_e64 s4, 32, v3
	v_mov_b32_e32 v17, 0
	s_waitcnt lgkmcnt(0)
	s_bitcmp1_b32 s5, 8
	v_mov_b32_e32 v16, 1
	s_cselect_b32 s26, -1, 0
	v_cndmask_b32_e64 v3, v2, v3, s4
	v_cmp_gt_i32_e64 s4, 32, v4
	s_ashr_i32 s21, s20, 31
	v_lshlrev_b32_e32 v9, 2, v1
	s_lshl_b64 s[28:29], s[20:21], 2
	v_lshlrev_b32_e32 v10, 2, v3
	v_cndmask_b32_e64 v4, v2, v4, s4
	v_cmp_gt_i32_e64 s4, 32, v5
	s_add_u32 s14, s14, s28
	s_addc_u32 s15, s15, s29
	s_and_b32 s21, s6, vcc_lo
	v_lshlrev_b32_e32 v11, 2, v4
	v_cndmask_b32_e64 v2, v2, v5, s4
	s_add_u32 s27, s10, 4
	s_addc_u32 s28, s11, 0
	s_mov_b32 s29, -1
	s_delay_alu instid0(VALU_DEP_1)
	v_lshlrev_b32_e32 v12, 2, v2
	s_branch .LBB13_9
.LBB13_8:                               ;   in Loop: Header=BB13_9 Depth=1
	s_or_b32 exec_lo, exec_lo, s4
	s_waitcnt lgkmcnt(0)
	s_barrier
	buffer_gl0_inv
	ds_load_b32 v17, v15 offset:2048
	s_waitcnt lgkmcnt(0)
	s_barrier
	buffer_gl0_inv
	v_cmp_gt_i32_e32 vcc_lo, s19, v17
	v_add_nc_u32_e32 v18, 0x800, v17
	s_cbranch_vccz .LBB13_67
.LBB13_9:                               ; =>This Loop Header: Depth=1
                                        ;     Child Loop BB13_18 Depth 2
                                        ;       Child Loop BB13_24 Depth 3
                                        ;     Child Loop BB13_45 Depth 2
                                        ;     Child Loop BB13_57 Depth 2
	;; [unrolled: 1-line block ×4, first 2 shown]
	s_and_saveexec_b32 s4, s29
	s_cbranch_execnz .LBB13_36
; %bb.10:                               ;   in Loop: Header=BB13_9 Depth=1
	s_or_b32 exec_lo, exec_lo, s4
	s_and_saveexec_b32 s4, s29
	s_cbranch_execnz .LBB13_37
.LBB13_11:                              ;   in Loop: Header=BB13_9 Depth=1
	s_or_b32 exec_lo, exec_lo, s4
	s_and_saveexec_b32 s4, s29
	s_cbranch_execnz .LBB13_38
.LBB13_12:                              ;   in Loop: Header=BB13_9 Depth=1
	s_or_b32 exec_lo, exec_lo, s4
	s_and_saveexec_b32 s4, s29
	s_cbranch_execnz .LBB13_39
.LBB13_13:                              ;   in Loop: Header=BB13_9 Depth=1
	s_or_b32 exec_lo, exec_lo, s4
	s_and_saveexec_b32 s4, s2
	s_cbranch_execz .LBB13_15
.LBB13_14:                              ;   in Loop: Header=BB13_9 Depth=1
	v_mov_b32_e32 v1, s19
	ds_store_b32 v15, v1 offset:2048
.LBB13_15:                              ;   in Loop: Header=BB13_9 Depth=1
	s_or_b32 exec_lo, exec_lo, s4
	v_mov_b32_e32 v19, s19
	s_waitcnt lgkmcnt(0)
	s_barrier
	buffer_gl0_inv
	s_and_saveexec_b32 s30, s21
	s_cbranch_execz .LBB13_41
; %bb.16:                               ;   in Loop: Header=BB13_9 Depth=1
	v_cmp_ne_u32_e64 s4, 0, v17
	v_mov_b32_e32 v19, s19
	v_mov_b32_e32 v1, v7
	s_mov_b32 s31, 0
	s_branch .LBB13_18
.LBB13_17:                              ;   in Loop: Header=BB13_18 Depth=2
	s_or_b32 exec_lo, exec_lo, s5
	v_add_nc_u32_e32 v1, 32, v1
	s_delay_alu instid0(VALU_DEP_1) | instskip(SKIP_1) | instid1(SALU_CYCLE_1)
	v_cmp_le_i32_e32 vcc_lo, s7, v1
	s_or_b32 s31, vcc_lo, s31
	s_and_not1_b32 exec_lo, exec_lo, s31
	s_cbranch_execz .LBB13_40
.LBB13_18:                              ;   Parent Loop BB13_9 Depth=1
                                        ; =>  This Loop Header: Depth=2
                                        ;       Child Loop BB13_24 Depth 3
	s_delay_alu instid0(VALU_DEP_1) | instskip(NEXT) | instid1(VALU_DEP_1)
	v_ashrrev_i32_e32 v2, 31, v1
	v_lshlrev_b64 v[2:3], 2, v[1:2]
	s_delay_alu instid0(VALU_DEP_1) | instskip(SKIP_1) | instid1(VALU_DEP_2)
	v_add_co_u32 v4, vcc_lo, s8, v2
	s_waitcnt lgkmcnt(0)
	v_add_co_ci_u32_e32 v5, vcc_lo, s9, v3, vcc_lo
	s_and_b32 vcc_lo, exec_lo, s4
	global_load_b32 v4, v[4:5], off
	s_waitcnt vmcnt(0)
	v_subrev_nc_u32_e32 v4, s16, v4
	s_delay_alu instid0(VALU_DEP_1)
	v_ashrrev_i32_e32 v5, 31, v4
	s_cbranch_vccz .LBB13_35
; %bb.19:                               ;   in Loop: Header=BB13_18 Depth=2
	v_add_co_u32 v20, vcc_lo, s22, v2
	v_add_co_ci_u32_e32 v21, vcc_lo, s23, v3, vcc_lo
	global_load_b32 v20, v[20:21], off
	s_cbranch_execnz .LBB13_21
.LBB13_20:                              ;   in Loop: Header=BB13_18 Depth=2
	s_waitcnt vmcnt(0)
	s_delay_alu instid0(VALU_DEP_1) | instskip(NEXT) | instid1(VALU_DEP_1)
	v_lshlrev_b64 v[20:21], 2, v[4:5]
	v_add_co_u32 v20, vcc_lo, s10, v20
	s_delay_alu instid0(VALU_DEP_2)
	v_add_co_ci_u32_e32 v21, vcc_lo, s11, v21, vcc_lo
	global_load_b32 v20, v[20:21], off
	s_waitcnt vmcnt(0)
	v_subrev_nc_u32_e32 v20, s17, v20
.LBB13_21:                              ;   in Loop: Header=BB13_18 Depth=2
	v_lshlrev_b64 v[4:5], 2, v[4:5]
	s_waitcnt vmcnt(0)
	s_delay_alu instid0(VALU_DEP_2) | instskip(SKIP_1) | instid1(VALU_DEP_2)
	v_add_nc_u32_e32 v20, v20, v6
	s_mov_b32 s33, exec_lo
	v_add_co_u32 v4, vcc_lo, s27, v4
	s_delay_alu instid0(VALU_DEP_3) | instskip(SKIP_3) | instid1(VALU_DEP_1)
	v_add_co_ci_u32_e32 v5, vcc_lo, s28, v5, vcc_lo
	global_load_b32 v4, v[4:5], off
	s_waitcnt vmcnt(0)
	v_subrev_nc_u32_e32 v21, s17, v4
	v_cmpx_lt_i32_e64 v20, v21
	s_cbranch_execz .LBB13_33
; %bb.22:                               ;   in Loop: Header=BB13_18 Depth=2
	v_mov_b32_e32 v4, v20
	s_mov_b32 s35, 0
                                        ; implicit-def: $sgpr34
                                        ; implicit-def: $sgpr36
	s_branch .LBB13_24
.LBB13_23:                              ;   in Loop: Header=BB13_24 Depth=3
	s_or_b32 exec_lo, exec_lo, s6
	s_delay_alu instid0(SALU_CYCLE_1) | instskip(SKIP_4) | instid1(SALU_CYCLE_1)
	s_and_b32 s5, exec_lo, s37
	v_mov_b32_e32 v4, v23
	s_or_b32 s35, s5, s35
	s_and_not1_b32 s5, s34, exec_lo
	s_and_b32 s6, s36, exec_lo
	s_or_b32 s34, s5, s6
	s_and_not1_b32 exec_lo, exec_lo, s35
	s_cbranch_execz .LBB13_30
.LBB13_24:                              ;   Parent Loop BB13_9 Depth=1
                                        ;     Parent Loop BB13_18 Depth=2
                                        ; =>    This Inner Loop Header: Depth=3
	s_delay_alu instid0(VALU_DEP_1) | instskip(NEXT) | instid1(VALU_DEP_1)
	v_ashrrev_i32_e32 v5, 31, v4
	v_lshlrev_b64 v[22:23], 2, v[4:5]
	s_delay_alu instid0(VALU_DEP_1) | instskip(NEXT) | instid1(VALU_DEP_2)
	v_add_co_u32 v22, vcc_lo, s12, v22
	v_add_co_ci_u32_e32 v23, vcc_lo, s13, v23, vcc_lo
	global_load_b32 v5, v[22:23], off
	s_waitcnt vmcnt(0)
	v_subrev_nc_u32_e32 v5, s17, v5
	s_delay_alu instid0(VALU_DEP_1) | instskip(SKIP_2) | instid1(VALU_DEP_2)
	v_cmp_lt_i32_e64 s5, v5, v17
	v_cmp_ge_i32_e64 s6, v5, v18
	v_cmp_lt_i32_e32 vcc_lo, v5, v18
	s_or_b32 s37, s5, s6
	s_mov_b32 s5, 0
                                        ; implicit-def: $sgpr6
	s_and_saveexec_b32 s38, s37
	s_delay_alu instid0(SALU_CYCLE_1)
	s_xor_b32 s37, exec_lo, s38
; %bb.25:                               ;   in Loop: Header=BB13_24 Depth=3
	s_mov_b32 s6, -1
	s_and_b32 s5, vcc_lo, exec_lo
; %bb.26:                               ;   in Loop: Header=BB13_24 Depth=3
	s_and_not1_saveexec_b32 s37, s37
	s_cbranch_execz .LBB13_28
; %bb.27:                               ;   in Loop: Header=BB13_24 Depth=3
	v_sub_nc_u32_e32 v22, v5, v17
	s_or_b32 s5, s5, exec_lo
	ds_store_b8 v22, v16
.LBB13_28:                              ;   in Loop: Header=BB13_24 Depth=3
	s_or_b32 exec_lo, exec_lo, s37
	v_mov_b32_e32 v22, v4
	s_and_not1_b32 s36, s36, exec_lo
	s_and_b32 s6, s6, exec_lo
	s_mov_b32 s37, -1
	s_or_b32 s36, s36, s6
                                        ; implicit-def: $vgpr23
	s_and_saveexec_b32 s6, s5
	s_cbranch_execz .LBB13_23
; %bb.29:                               ;   in Loop: Header=BB13_24 Depth=3
	v_dual_mov_b32 v22, v4 :: v_dual_add_nc_u32 v23, 16, v4
	s_and_not1_b32 s36, s36, exec_lo
	s_delay_alu instid0(VALU_DEP_1)
	v_cmp_ge_i32_e32 vcc_lo, v23, v21
	s_or_not1_b32 s37, vcc_lo, exec_lo
	s_branch .LBB13_23
.LBB13_30:                              ;   in Loop: Header=BB13_18 Depth=2
	s_or_b32 exec_lo, exec_lo, s35
	s_and_saveexec_b32 s5, s34
	s_delay_alu instid0(SALU_CYCLE_1)
	s_xor_b32 s5, exec_lo, s5
; %bb.31:                               ;   in Loop: Header=BB13_18 Depth=2
	v_min_i32_e32 v19, v5, v19
	v_mov_b32_e32 v20, v22
; %bb.32:                               ;   in Loop: Header=BB13_18 Depth=2
	s_or_b32 exec_lo, exec_lo, s5
.LBB13_33:                              ;   in Loop: Header=BB13_18 Depth=2
	s_delay_alu instid0(SALU_CYCLE_1)
	s_or_b32 exec_lo, exec_lo, s33
	ds_bpermute_b32 v4, v9, v20
	s_waitcnt lgkmcnt(0)
	v_min_i32_e32 v4, v4, v20
	ds_bpermute_b32 v5, v10, v4
	s_waitcnt lgkmcnt(0)
	v_min_i32_e32 v4, v5, v4
	;; [unrolled: 3-line block ×3, first 2 shown]
	ds_bpermute_b32 v5, v12, v4
	s_and_saveexec_b32 s5, s3
	s_cbranch_execz .LBB13_17
; %bb.34:                               ;   in Loop: Header=BB13_18 Depth=2
	v_add_co_u32 v2, vcc_lo, s22, v2
	v_add_co_ci_u32_e32 v3, vcc_lo, s23, v3, vcc_lo
	s_waitcnt lgkmcnt(0)
	v_min_i32_e32 v4, v5, v4
	global_store_b32 v[2:3], v4, off
	s_branch .LBB13_17
.LBB13_35:                              ;   in Loop: Header=BB13_18 Depth=2
                                        ; implicit-def: $vgpr20
	s_branch .LBB13_20
.LBB13_36:                              ;   in Loop: Header=BB13_9 Depth=1
	ds_store_b8 v0, v14
	s_or_b32 exec_lo, exec_lo, s4
	s_and_saveexec_b32 s4, s29
	s_cbranch_execz .LBB13_11
.LBB13_37:                              ;   in Loop: Header=BB13_9 Depth=1
	ds_store_b8 v0, v14 offset:512
	s_or_b32 exec_lo, exec_lo, s4
	s_and_saveexec_b32 s4, s29
	s_cbranch_execz .LBB13_12
.LBB13_38:                              ;   in Loop: Header=BB13_9 Depth=1
	ds_store_b8 v0, v14 offset:1024
	s_or_b32 exec_lo, exec_lo, s4
	s_and_saveexec_b32 s4, s29
	s_cbranch_execz .LBB13_13
.LBB13_39:                              ;   in Loop: Header=BB13_9 Depth=1
	ds_store_b8 v0, v14 offset:1536
	s_or_b32 exec_lo, exec_lo, s4
	s_and_saveexec_b32 s4, s2
	s_cbranch_execnz .LBB13_14
	s_branch .LBB13_15
.LBB13_40:                              ;   in Loop: Header=BB13_9 Depth=1
	s_or_b32 exec_lo, exec_lo, s31
.LBB13_41:                              ;   in Loop: Header=BB13_9 Depth=1
	s_delay_alu instid0(SALU_CYCLE_1) | instskip(NEXT) | instid1(SALU_CYCLE_1)
	s_or_b32 exec_lo, exec_lo, s30
	s_and_not1_b32 vcc_lo, exec_lo, s26
	s_cbranch_vccnz .LBB13_55
; %bb.42:                               ;   in Loop: Header=BB13_9 Depth=1
	s_load_b64 s[4:5], s[14:15], 0x0
	s_mov_b32 s6, exec_lo
	s_waitcnt lgkmcnt(0)
	v_add_nc_u32_e32 v1, s4, v8
	s_sub_i32 s30, s5, s18
	s_delay_alu instid0(VALU_DEP_1) | instid1(SALU_CYCLE_1)
	v_cmpx_gt_i32_e64 s30, v1
	s_cbranch_execz .LBB13_54
; %bb.43:                               ;   in Loop: Header=BB13_9 Depth=1
	s_mov_b32 s31, 0
                                        ; implicit-def: $sgpr33
                                        ; implicit-def: $sgpr34
	s_set_inst_prefetch_distance 0x1
	s_branch .LBB13_45
	.p2align	6
.LBB13_44:                              ;   in Loop: Header=BB13_45 Depth=2
	s_or_b32 exec_lo, exec_lo, s35
	s_delay_alu instid0(SALU_CYCLE_1) | instskip(NEXT) | instid1(SALU_CYCLE_1)
	s_and_b32 s4, exec_lo, s5
	s_or_b32 s31, s4, s31
	s_and_not1_b32 s4, s33, exec_lo
	s_and_b32 s5, s34, exec_lo
	s_delay_alu instid0(SALU_CYCLE_1)
	s_or_b32 s33, s4, s5
	s_and_not1_b32 exec_lo, exec_lo, s31
	s_cbranch_execz .LBB13_51
.LBB13_45:                              ;   Parent Loop BB13_9 Depth=1
                                        ; =>  This Inner Loop Header: Depth=2
	v_ashrrev_i32_e32 v2, 31, v1
	s_delay_alu instid0(VALU_DEP_1) | instskip(NEXT) | instid1(VALU_DEP_1)
	v_lshlrev_b64 v[2:3], 2, v[1:2]
	v_add_co_u32 v2, vcc_lo, s24, v2
	s_delay_alu instid0(VALU_DEP_2) | instskip(SKIP_3) | instid1(VALU_DEP_1)
	v_add_co_ci_u32_e32 v3, vcc_lo, s25, v3, vcc_lo
	global_load_b32 v2, v[2:3], off
	s_waitcnt vmcnt(0)
	v_subrev_nc_u32_e32 v2, s18, v2
	v_cmp_lt_i32_e64 s4, v2, v17
	v_cmp_ge_i32_e64 s5, v2, v18
	v_cmp_lt_i32_e32 vcc_lo, v2, v18
	s_delay_alu instid0(VALU_DEP_2) | instskip(SKIP_2) | instid1(SALU_CYCLE_1)
	s_or_b32 s35, s4, s5
	s_mov_b32 s4, 0
                                        ; implicit-def: $sgpr5
	s_and_saveexec_b32 s36, s35
	s_xor_b32 s35, exec_lo, s36
; %bb.46:                               ;   in Loop: Header=BB13_45 Depth=2
	s_mov_b32 s5, -1
	s_and_b32 s4, vcc_lo, exec_lo
; %bb.47:                               ;   in Loop: Header=BB13_45 Depth=2
	s_and_not1_saveexec_b32 s35, s35
	s_cbranch_execz .LBB13_49
; %bb.48:                               ;   in Loop: Header=BB13_45 Depth=2
	v_sub_nc_u32_e32 v3, v2, v17
	s_or_b32 s4, s4, exec_lo
	ds_store_b8 v3, v16
.LBB13_49:                              ;   in Loop: Header=BB13_45 Depth=2
	s_or_b32 exec_lo, exec_lo, s35
	s_delay_alu instid0(SALU_CYCLE_1)
	s_and_not1_b32 s34, s34, exec_lo
	s_and_b32 s35, s5, exec_lo
	s_mov_b32 s5, -1
	s_or_b32 s34, s34, s35
	s_and_saveexec_b32 s35, s4
	s_cbranch_execz .LBB13_44
; %bb.50:                               ;   in Loop: Header=BB13_45 Depth=2
	v_add_nc_u32_e32 v1, 0x200, v1
	s_and_not1_b32 s34, s34, exec_lo
	s_delay_alu instid0(VALU_DEP_1)
	v_cmp_le_i32_e32 vcc_lo, s30, v1
	s_or_not1_b32 s5, vcc_lo, exec_lo
	s_branch .LBB13_44
.LBB13_51:                              ;   in Loop: Header=BB13_9 Depth=1
	s_set_inst_prefetch_distance 0x2
	s_or_b32 exec_lo, exec_lo, s31
	s_and_saveexec_b32 s4, s33
	s_delay_alu instid0(SALU_CYCLE_1)
	s_xor_b32 s4, exec_lo, s4
; %bb.52:                               ;   in Loop: Header=BB13_9 Depth=1
	v_min_i32_e32 v19, v2, v19
; %bb.53:                               ;   in Loop: Header=BB13_9 Depth=1
	s_or_b32 exec_lo, exec_lo, s4
.LBB13_54:                              ;   in Loop: Header=BB13_9 Depth=1
	s_delay_alu instid0(SALU_CYCLE_1)
	s_or_b32 exec_lo, exec_lo, s6
.LBB13_55:                              ;   in Loop: Header=BB13_9 Depth=1
	ds_bpermute_b32 v1, v9, v19
	s_waitcnt lgkmcnt(0)
	v_min_i32_e32 v1, v1, v19
	ds_bpermute_b32 v2, v10, v1
	s_waitcnt lgkmcnt(0)
	v_min_i32_e32 v1, v2, v1
	ds_bpermute_b32 v2, v11, v1
	s_waitcnt lgkmcnt(0)
	v_min_i32_e32 v1, v2, v1
	ds_bpermute_b32 v2, v12, v1
	s_and_saveexec_b32 s4, s3
	s_cbranch_execz .LBB13_60
; %bb.56:                               ;   in Loop: Header=BB13_9 Depth=1
	s_waitcnt lgkmcnt(0)
	v_min_i32_e32 v1, v2, v1
	s_mov_b32 s6, exec_lo
	s_brev_b32 s5, -2
.LBB13_57:                              ;   Parent Loop BB13_9 Depth=1
                                        ; =>  This Inner Loop Header: Depth=2
	s_ctz_i32_b32 s30, s6
	s_delay_alu instid0(VALU_DEP_1) | instid1(SALU_CYCLE_1)
	v_readlane_b32 s31, v1, s30
	s_lshl_b32 s30, 1, s30
	s_delay_alu instid0(SALU_CYCLE_1) | instskip(NEXT) | instid1(VALU_DEP_1)
	s_and_not1_b32 s6, s6, s30
	s_min_i32 s5, s5, s31
	s_cmp_lg_u32 s6, 0
	s_cbranch_scc1 .LBB13_57
; %bb.58:                               ;   in Loop: Header=BB13_9 Depth=1
	v_mbcnt_lo_u32_b32 v1, exec_lo, 0
	s_mov_b32 s6, exec_lo
	s_delay_alu instid0(VALU_DEP_1)
	v_cmpx_eq_u32_e32 0, v1
	s_xor_b32 s6, exec_lo, s6
	s_cbranch_execz .LBB13_60
; %bb.59:                               ;   in Loop: Header=BB13_9 Depth=1
	v_mov_b32_e32 v1, s5
	ds_min_i32 v15, v1 offset:2048
.LBB13_60:                              ;   in Loop: Header=BB13_9 Depth=1
	s_or_b32 exec_lo, exec_lo, s4
	s_waitcnt lgkmcnt(0)
	v_dual_mov_b32 v1, 0 :: v_dual_mov_b32 v2, v13
	s_mov_b32 s4, 0
	s_waitcnt_vscnt null, 0x0
	s_barrier
	buffer_gl0_inv
.LBB13_61:                              ;   Parent Loop BB13_9 Depth=1
                                        ; =>  This Inner Loop Header: Depth=2
	ds_load_u8 v3, v2 offset:512
	v_add_nc_u32_e32 v2, 0x200, v2
	s_delay_alu instid0(VALU_DEP_1)
	v_cmp_lt_u32_e32 vcc_lo, 0x5ff, v2
	s_or_b32 s4, vcc_lo, s4
	s_waitcnt lgkmcnt(0)
	v_add_nc_u32_e32 v1, v1, v3
	s_and_not1_b32 exec_lo, exec_lo, s4
	s_cbranch_execnz .LBB13_61
; %bb.62:                               ;   in Loop: Header=BB13_9 Depth=1
	s_or_b32 exec_lo, exec_lo, s4
	ds_bpermute_b32 v2, v9, v1
	s_waitcnt lgkmcnt(0)
	v_add_nc_u32_e32 v1, v2, v1
	ds_bpermute_b32 v2, v10, v1
	s_waitcnt lgkmcnt(0)
	v_add_nc_u32_e32 v1, v2, v1
	;; [unrolled: 3-line block ×3, first 2 shown]
	ds_bpermute_b32 v2, v12, v1
	s_and_saveexec_b32 s4, s3
	s_cbranch_execz .LBB13_8
; %bb.63:                               ;   in Loop: Header=BB13_9 Depth=1
	s_waitcnt lgkmcnt(0)
	v_add_nc_u32_e32 v1, v2, v1
	s_mov_b32 s6, exec_lo
	s_mov_b32 s5, 0
.LBB13_64:                              ;   Parent Loop BB13_9 Depth=1
                                        ; =>  This Inner Loop Header: Depth=2
	s_ctz_i32_b32 s30, s6
	s_delay_alu instid0(VALU_DEP_1) | instid1(SALU_CYCLE_1)
	v_readlane_b32 s31, v1, s30
	s_lshl_b32 s30, 1, s30
	s_delay_alu instid0(SALU_CYCLE_1) | instskip(NEXT) | instid1(VALU_DEP_1)
	s_and_not1_b32 s6, s6, s30
	s_add_i32 s5, s5, s31
	s_cmp_lg_u32 s6, 0
	s_cbranch_scc1 .LBB13_64
; %bb.65:                               ;   in Loop: Header=BB13_9 Depth=1
	v_mbcnt_lo_u32_b32 v1, exec_lo, 0
	s_mov_b32 s6, exec_lo
	s_delay_alu instid0(VALU_DEP_1)
	v_cmpx_eq_u32_e32 0, v1
	s_xor_b32 s6, exec_lo, s6
	s_cbranch_execz .LBB13_8
; %bb.66:                               ;   in Loop: Header=BB13_9 Depth=1
	v_mov_b32_e32 v1, s5
	ds_add_u32 v15, v1 offset:2052
	s_branch .LBB13_8
.LBB13_67:
	s_and_saveexec_b32 s3, s2
	s_cbranch_execz .LBB13_69
; %bb.68:
	v_mov_b32_e32 v0, 0
	s_load_b64 s[0:1], s[0:1], 0x48
	s_ashr_i32 s21, s20, 31
	s_delay_alu instid0(SALU_CYCLE_1)
	s_lshl_b64 s[2:3], s[20:21], 2
	ds_load_b32 v1, v0 offset:2052
	s_waitcnt lgkmcnt(0)
	s_add_u32 s0, s0, s2
	s_addc_u32 s1, s1, s3
	global_store_b32 v0, v1, s[0:1]
.LBB13_69:
	s_nop 0
	s_sendmsg sendmsg(MSG_DEALLOC_VGPRS)
	s_endpgm
	.section	.rodata,"a",@progbits
	.p2align	6, 0x0
	.amdhsa_kernel _ZN9rocsparseL35csrgemm_nnz_block_per_row_multipassILj512ELj16ELj2048EiiEEvT3_PKS1_S3_PKT2_S3_S6_S3_S6_S3_PS4_S7_21rocsparse_index_base_S8_S8_bb
		.amdhsa_group_segment_fixed_size 2056
		.amdhsa_private_segment_fixed_size 0
		.amdhsa_kernarg_size 104
		.amdhsa_user_sgpr_count 15
		.amdhsa_user_sgpr_dispatch_ptr 0
		.amdhsa_user_sgpr_queue_ptr 0
		.amdhsa_user_sgpr_kernarg_segment_ptr 1
		.amdhsa_user_sgpr_dispatch_id 0
		.amdhsa_user_sgpr_private_segment_size 0
		.amdhsa_wavefront_size32 1
		.amdhsa_uses_dynamic_stack 0
		.amdhsa_enable_private_segment 0
		.amdhsa_system_sgpr_workgroup_id_x 1
		.amdhsa_system_sgpr_workgroup_id_y 0
		.amdhsa_system_sgpr_workgroup_id_z 0
		.amdhsa_system_sgpr_workgroup_info 0
		.amdhsa_system_vgpr_workitem_id 0
		.amdhsa_next_free_vgpr 24
		.amdhsa_next_free_sgpr 39
		.amdhsa_reserve_vcc 1
		.amdhsa_float_round_mode_32 0
		.amdhsa_float_round_mode_16_64 0
		.amdhsa_float_denorm_mode_32 3
		.amdhsa_float_denorm_mode_16_64 3
		.amdhsa_dx10_clamp 1
		.amdhsa_ieee_mode 1
		.amdhsa_fp16_overflow 0
		.amdhsa_workgroup_processor_mode 1
		.amdhsa_memory_ordered 1
		.amdhsa_forward_progress 0
		.amdhsa_shared_vgpr_count 0
		.amdhsa_exception_fp_ieee_invalid_op 0
		.amdhsa_exception_fp_denorm_src 0
		.amdhsa_exception_fp_ieee_div_zero 0
		.amdhsa_exception_fp_ieee_overflow 0
		.amdhsa_exception_fp_ieee_underflow 0
		.amdhsa_exception_fp_ieee_inexact 0
		.amdhsa_exception_int_div_zero 0
	.end_amdhsa_kernel
	.section	.text._ZN9rocsparseL35csrgemm_nnz_block_per_row_multipassILj512ELj16ELj2048EiiEEvT3_PKS1_S3_PKT2_S3_S6_S3_S6_S3_PS4_S7_21rocsparse_index_base_S8_S8_bb,"axG",@progbits,_ZN9rocsparseL35csrgemm_nnz_block_per_row_multipassILj512ELj16ELj2048EiiEEvT3_PKS1_S3_PKT2_S3_S6_S3_S6_S3_PS4_S7_21rocsparse_index_base_S8_S8_bb,comdat
.Lfunc_end13:
	.size	_ZN9rocsparseL35csrgemm_nnz_block_per_row_multipassILj512ELj16ELj2048EiiEEvT3_PKS1_S3_PKT2_S3_S6_S3_S6_S3_PS4_S7_21rocsparse_index_base_S8_S8_bb, .Lfunc_end13-_ZN9rocsparseL35csrgemm_nnz_block_per_row_multipassILj512ELj16ELj2048EiiEEvT3_PKS1_S3_PKT2_S3_S6_S3_S6_S3_PS4_S7_21rocsparse_index_base_S8_S8_bb
                                        ; -- End function
	.section	.AMDGPU.csdata,"",@progbits
; Kernel info:
; codeLenInByte = 2208
; NumSgprs: 41
; NumVgprs: 24
; ScratchSize: 0
; MemoryBound: 0
; FloatMode: 240
; IeeeMode: 1
; LDSByteSize: 2056 bytes/workgroup (compile time only)
; SGPRBlocks: 5
; VGPRBlocks: 2
; NumSGPRsForWavesPerEU: 41
; NumVGPRsForWavesPerEU: 24
; Occupancy: 16
; WaveLimiterHint : 1
; COMPUTE_PGM_RSRC2:SCRATCH_EN: 0
; COMPUTE_PGM_RSRC2:USER_SGPR: 15
; COMPUTE_PGM_RSRC2:TRAP_HANDLER: 0
; COMPUTE_PGM_RSRC2:TGID_X_EN: 1
; COMPUTE_PGM_RSRC2:TGID_Y_EN: 0
; COMPUTE_PGM_RSRC2:TGID_Z_EN: 0
; COMPUTE_PGM_RSRC2:TIDIG_COMP_CNT: 0
	.section	.text._ZN9rocsparseL18csrgemm_index_baseILj1EiEEvPT0_,"axG",@progbits,_ZN9rocsparseL18csrgemm_index_baseILj1EiEEvPT0_,comdat
	.globl	_ZN9rocsparseL18csrgemm_index_baseILj1EiEEvPT0_ ; -- Begin function _ZN9rocsparseL18csrgemm_index_baseILj1EiEEvPT0_
	.p2align	8
	.type	_ZN9rocsparseL18csrgemm_index_baseILj1EiEEvPT0_,@function
_ZN9rocsparseL18csrgemm_index_baseILj1EiEEvPT0_: ; @_ZN9rocsparseL18csrgemm_index_baseILj1EiEEvPT0_
; %bb.0:
	s_load_b64 s[0:1], s[0:1], 0x0
	s_waitcnt lgkmcnt(0)
	s_load_b32 s2, s[0:1], 0x0
	s_waitcnt lgkmcnt(0)
	s_add_i32 s2, s2, -1
	s_delay_alu instid0(SALU_CYCLE_1)
	v_dual_mov_b32 v0, 0 :: v_dual_mov_b32 v1, s2
	global_store_b32 v0, v1, s[0:1]
	s_nop 0
	s_sendmsg sendmsg(MSG_DEALLOC_VGPRS)
	s_endpgm
	.section	.rodata,"a",@progbits
	.p2align	6, 0x0
	.amdhsa_kernel _ZN9rocsparseL18csrgemm_index_baseILj1EiEEvPT0_
		.amdhsa_group_segment_fixed_size 0
		.amdhsa_private_segment_fixed_size 0
		.amdhsa_kernarg_size 8
		.amdhsa_user_sgpr_count 15
		.amdhsa_user_sgpr_dispatch_ptr 0
		.amdhsa_user_sgpr_queue_ptr 0
		.amdhsa_user_sgpr_kernarg_segment_ptr 1
		.amdhsa_user_sgpr_dispatch_id 0
		.amdhsa_user_sgpr_private_segment_size 0
		.amdhsa_wavefront_size32 1
		.amdhsa_uses_dynamic_stack 0
		.amdhsa_enable_private_segment 0
		.amdhsa_system_sgpr_workgroup_id_x 1
		.amdhsa_system_sgpr_workgroup_id_y 0
		.amdhsa_system_sgpr_workgroup_id_z 0
		.amdhsa_system_sgpr_workgroup_info 0
		.amdhsa_system_vgpr_workitem_id 0
		.amdhsa_next_free_vgpr 2
		.amdhsa_next_free_sgpr 3
		.amdhsa_reserve_vcc 0
		.amdhsa_float_round_mode_32 0
		.amdhsa_float_round_mode_16_64 0
		.amdhsa_float_denorm_mode_32 3
		.amdhsa_float_denorm_mode_16_64 3
		.amdhsa_dx10_clamp 1
		.amdhsa_ieee_mode 1
		.amdhsa_fp16_overflow 0
		.amdhsa_workgroup_processor_mode 1
		.amdhsa_memory_ordered 1
		.amdhsa_forward_progress 0
		.amdhsa_shared_vgpr_count 0
		.amdhsa_exception_fp_ieee_invalid_op 0
		.amdhsa_exception_fp_denorm_src 0
		.amdhsa_exception_fp_ieee_div_zero 0
		.amdhsa_exception_fp_ieee_overflow 0
		.amdhsa_exception_fp_ieee_underflow 0
		.amdhsa_exception_fp_ieee_inexact 0
		.amdhsa_exception_int_div_zero 0
	.end_amdhsa_kernel
	.section	.text._ZN9rocsparseL18csrgemm_index_baseILj1EiEEvPT0_,"axG",@progbits,_ZN9rocsparseL18csrgemm_index_baseILj1EiEEvPT0_,comdat
.Lfunc_end14:
	.size	_ZN9rocsparseL18csrgemm_index_baseILj1EiEEvPT0_, .Lfunc_end14-_ZN9rocsparseL18csrgemm_index_baseILj1EiEEvPT0_
                                        ; -- End function
	.section	.AMDGPU.csdata,"",@progbits
; Kernel info:
; codeLenInByte = 60
; NumSgprs: 3
; NumVgprs: 2
; ScratchSize: 0
; MemoryBound: 0
; FloatMode: 240
; IeeeMode: 1
; LDSByteSize: 0 bytes/workgroup (compile time only)
; SGPRBlocks: 0
; VGPRBlocks: 0
; NumSGPRsForWavesPerEU: 3
; NumVGPRsForWavesPerEU: 2
; Occupancy: 16
; WaveLimiterHint : 0
; COMPUTE_PGM_RSRC2:SCRATCH_EN: 0
; COMPUTE_PGM_RSRC2:USER_SGPR: 15
; COMPUTE_PGM_RSRC2:TRAP_HANDLER: 0
; COMPUTE_PGM_RSRC2:TGID_X_EN: 1
; COMPUTE_PGM_RSRC2:TGID_Y_EN: 0
; COMPUTE_PGM_RSRC2:TGID_Z_EN: 0
; COMPUTE_PGM_RSRC2:TIDIG_COMP_CNT: 0
	.section	.text._ZN9rocsparseL29csrgemm_intermediate_productsILj256ELj8EilEEvT2_PKT1_PKS1_S4_S4_PS2_21rocsparse_index_base_bb,"axG",@progbits,_ZN9rocsparseL29csrgemm_intermediate_productsILj256ELj8EilEEvT2_PKT1_PKS1_S4_S4_PS2_21rocsparse_index_base_bb,comdat
	.globl	_ZN9rocsparseL29csrgemm_intermediate_productsILj256ELj8EilEEvT2_PKT1_PKS1_S4_S4_PS2_21rocsparse_index_base_bb ; -- Begin function _ZN9rocsparseL29csrgemm_intermediate_productsILj256ELj8EilEEvT2_PKT1_PKS1_S4_S4_PS2_21rocsparse_index_base_bb
	.p2align	8
	.type	_ZN9rocsparseL29csrgemm_intermediate_productsILj256ELj8EilEEvT2_PKT1_PKS1_S4_S4_PS2_21rocsparse_index_base_bb,@function
_ZN9rocsparseL29csrgemm_intermediate_productsILj256ELj8EilEEvT2_PKT1_PKS1_S4_S4_PS2_21rocsparse_index_base_bb: ; @_ZN9rocsparseL29csrgemm_intermediate_productsILj256ELj8EilEEvT2_PKT1_PKS1_S4_S4_PS2_21rocsparse_index_base_bb
; %bb.0:
	s_load_b64 s[2:3], s[0:1], 0x0
	v_lshl_or_b32 v1, s15, 8, v0
	v_mov_b32_e32 v2, 0
	s_delay_alu instid0(VALU_DEP_2) | instskip(SKIP_1) | instid1(VALU_DEP_1)
	v_lshrrev_b32_e32 v1, 3, v1
	s_waitcnt lgkmcnt(0)
	v_cmp_gt_i64_e32 vcc_lo, s[2:3], v[1:2]
	s_and_saveexec_b32 s2, vcc_lo
	s_cbranch_execz .LBB15_11
; %bb.1:
	s_clause 0x1
	s_load_b64 s[2:3], s[0:1], 0x30
	s_load_b128 s[4:7], s[0:1], 0x20
	v_dual_mov_b32 v0, 0 :: v_dual_and_b32 v3, 7, v0
	v_lshlrev_b32_e32 v2, 2, v1
	s_waitcnt lgkmcnt(0)
	s_bitcmp0_b32 s3, 0
	s_cbranch_scc1 .LBB15_7
; %bb.2:
	s_load_b64 s[8:9], s[0:1], 0x8
	v_subrev_nc_u32_e32 v4, s2, v3
	s_mov_b32 s3, exec_lo
	s_waitcnt lgkmcnt(0)
	global_load_b64 v[0:1], v2, s[8:9]
	s_waitcnt vmcnt(0)
	v_subrev_nc_u32_e32 v5, s2, v1
	v_add_nc_u32_e32 v0, v4, v0
	v_mov_b32_e32 v4, 0
	s_delay_alu instid0(VALU_DEP_2)
	v_cmpx_lt_i32_e64 v0, v5
	s_cbranch_execz .LBB15_6
; %bb.3:
	s_load_b128 s[8:11], s[0:1], 0x10
	v_mov_b32_e32 v4, 0
	s_mov_b32 s12, 0
	.p2align	6
.LBB15_4:                               ; =>This Inner Loop Header: Depth=1
	v_ashrrev_i32_e32 v1, 31, v0
	s_delay_alu instid0(VALU_DEP_1) | instskip(SKIP_2) | instid1(VALU_DEP_2)
	v_lshlrev_b64 v[6:7], 3, v[0:1]
	v_add_nc_u32_e32 v0, 8, v0
	s_waitcnt lgkmcnt(0)
	v_add_co_u32 v6, vcc_lo, s8, v6
	s_delay_alu instid0(VALU_DEP_3) | instskip(SKIP_4) | instid1(VALU_DEP_1)
	v_add_co_ci_u32_e32 v7, vcc_lo, s9, v7, vcc_lo
	global_load_b64 v[6:7], v[6:7], off
	s_waitcnt vmcnt(0)
	v_sub_co_u32 v6, vcc_lo, v6, s2
	v_subrev_co_ci_u32_e32 v7, vcc_lo, 0, v7, vcc_lo
	v_lshlrev_b64 v[6:7], 2, v[6:7]
	s_delay_alu instid0(VALU_DEP_1) | instskip(NEXT) | instid1(VALU_DEP_2)
	v_add_co_u32 v6, vcc_lo, s10, v6
	v_add_co_ci_u32_e32 v7, vcc_lo, s11, v7, vcc_lo
	v_cmp_ge_i32_e32 vcc_lo, v0, v5
	global_load_b64 v[6:7], v[6:7], off
	s_or_b32 s12, vcc_lo, s12
	s_waitcnt vmcnt(0)
	v_add_nc_u32_e32 v1, v7, v4
	s_delay_alu instid0(VALU_DEP_1)
	v_sub_nc_u32_e32 v4, v1, v6
	s_and_not1_b32 exec_lo, exec_lo, s12
	s_cbranch_execnz .LBB15_4
; %bb.5:
	s_or_b32 exec_lo, exec_lo, s12
.LBB15_6:
	s_delay_alu instid0(SALU_CYCLE_1) | instskip(SKIP_1) | instid1(VALU_DEP_1)
	s_or_b32 exec_lo, exec_lo, s3
	v_mbcnt_lo_u32_b32 v0, -1, 0
	v_xor_b32_e32 v1, 4, v0
	v_xor_b32_e32 v5, 2, v0
	s_delay_alu instid0(VALU_DEP_2) | instskip(SKIP_1) | instid1(VALU_DEP_3)
	v_cmp_gt_i32_e32 vcc_lo, 32, v1
	v_cndmask_b32_e32 v1, v0, v1, vcc_lo
	v_cmp_gt_i32_e32 vcc_lo, 32, v5
	s_delay_alu instid0(VALU_DEP_2)
	v_lshlrev_b32_e32 v1, 2, v1
	v_cndmask_b32_e32 v5, v0, v5, vcc_lo
	ds_bpermute_b32 v1, v1, v4
	v_lshlrev_b32_e32 v5, 2, v5
	s_waitcnt lgkmcnt(0)
	v_add_nc_u32_e32 v1, v1, v4
	ds_bpermute_b32 v4, v5, v1
	v_xor_b32_e32 v5, 1, v0
	s_delay_alu instid0(VALU_DEP_1) | instskip(SKIP_1) | instid1(VALU_DEP_1)
	v_cmp_gt_i32_e32 vcc_lo, 32, v5
	v_cndmask_b32_e32 v0, v0, v5, vcc_lo
	v_lshlrev_b32_e32 v0, 2, v0
	s_waitcnt lgkmcnt(0)
	v_add_nc_u32_e32 v1, v4, v1
	ds_bpermute_b32 v0, v0, v1
	s_waitcnt lgkmcnt(0)
	v_add_nc_u32_e32 v0, v0, v1
.LBB15_7:
	v_cmp_eq_u32_e32 vcc_lo, 7, v3
	s_and_b32 exec_lo, exec_lo, vcc_lo
	s_cbranch_execz .LBB15_11
; %bb.8:
	s_load_b32 s0, s[0:1], 0x34
	s_waitcnt lgkmcnt(0)
	s_bfe_u32 s0, s0, 0x10008
	s_delay_alu instid0(SALU_CYCLE_1)
	s_cmp_eq_u32 s0, 0
	s_cbranch_scc1 .LBB15_10
; %bb.9:
	global_load_b64 v[3:4], v2, s[4:5]
	s_waitcnt vmcnt(0)
	v_add_nc_u32_e32 v0, v4, v0
	s_delay_alu instid0(VALU_DEP_1)
	v_sub_nc_u32_e32 v0, v0, v3
.LBB15_10:
	global_store_b32 v2, v0, s[6:7]
.LBB15_11:
	s_nop 0
	s_sendmsg sendmsg(MSG_DEALLOC_VGPRS)
	s_endpgm
	.section	.rodata,"a",@progbits
	.p2align	6, 0x0
	.amdhsa_kernel _ZN9rocsparseL29csrgemm_intermediate_productsILj256ELj8EilEEvT2_PKT1_PKS1_S4_S4_PS2_21rocsparse_index_base_bb
		.amdhsa_group_segment_fixed_size 0
		.amdhsa_private_segment_fixed_size 0
		.amdhsa_kernarg_size 56
		.amdhsa_user_sgpr_count 15
		.amdhsa_user_sgpr_dispatch_ptr 0
		.amdhsa_user_sgpr_queue_ptr 0
		.amdhsa_user_sgpr_kernarg_segment_ptr 1
		.amdhsa_user_sgpr_dispatch_id 0
		.amdhsa_user_sgpr_private_segment_size 0
		.amdhsa_wavefront_size32 1
		.amdhsa_uses_dynamic_stack 0
		.amdhsa_enable_private_segment 0
		.amdhsa_system_sgpr_workgroup_id_x 1
		.amdhsa_system_sgpr_workgroup_id_y 0
		.amdhsa_system_sgpr_workgroup_id_z 0
		.amdhsa_system_sgpr_workgroup_info 0
		.amdhsa_system_vgpr_workitem_id 0
		.amdhsa_next_free_vgpr 8
		.amdhsa_next_free_sgpr 16
		.amdhsa_reserve_vcc 1
		.amdhsa_float_round_mode_32 0
		.amdhsa_float_round_mode_16_64 0
		.amdhsa_float_denorm_mode_32 3
		.amdhsa_float_denorm_mode_16_64 3
		.amdhsa_dx10_clamp 1
		.amdhsa_ieee_mode 1
		.amdhsa_fp16_overflow 0
		.amdhsa_workgroup_processor_mode 1
		.amdhsa_memory_ordered 1
		.amdhsa_forward_progress 0
		.amdhsa_shared_vgpr_count 0
		.amdhsa_exception_fp_ieee_invalid_op 0
		.amdhsa_exception_fp_denorm_src 0
		.amdhsa_exception_fp_ieee_div_zero 0
		.amdhsa_exception_fp_ieee_overflow 0
		.amdhsa_exception_fp_ieee_underflow 0
		.amdhsa_exception_fp_ieee_inexact 0
		.amdhsa_exception_int_div_zero 0
	.end_amdhsa_kernel
	.section	.text._ZN9rocsparseL29csrgemm_intermediate_productsILj256ELj8EilEEvT2_PKT1_PKS1_S4_S4_PS2_21rocsparse_index_base_bb,"axG",@progbits,_ZN9rocsparseL29csrgemm_intermediate_productsILj256ELj8EilEEvT2_PKT1_PKS1_S4_S4_PS2_21rocsparse_index_base_bb,comdat
.Lfunc_end15:
	.size	_ZN9rocsparseL29csrgemm_intermediate_productsILj256ELj8EilEEvT2_PKT1_PKS1_S4_S4_PS2_21rocsparse_index_base_bb, .Lfunc_end15-_ZN9rocsparseL29csrgemm_intermediate_productsILj256ELj8EilEEvT2_PKT1_PKS1_S4_S4_PS2_21rocsparse_index_base_bb
                                        ; -- End function
	.section	.AMDGPU.csdata,"",@progbits
; Kernel info:
; codeLenInByte = 508
; NumSgprs: 18
; NumVgprs: 8
; ScratchSize: 0
; MemoryBound: 0
; FloatMode: 240
; IeeeMode: 1
; LDSByteSize: 0 bytes/workgroup (compile time only)
; SGPRBlocks: 2
; VGPRBlocks: 0
; NumSGPRsForWavesPerEU: 18
; NumVGPRsForWavesPerEU: 8
; Occupancy: 16
; WaveLimiterHint : 1
; COMPUTE_PGM_RSRC2:SCRATCH_EN: 0
; COMPUTE_PGM_RSRC2:USER_SGPR: 15
; COMPUTE_PGM_RSRC2:TRAP_HANDLER: 0
; COMPUTE_PGM_RSRC2:TGID_X_EN: 1
; COMPUTE_PGM_RSRC2:TGID_Y_EN: 0
; COMPUTE_PGM_RSRC2:TGID_Z_EN: 0
; COMPUTE_PGM_RSRC2:TIDIG_COMP_CNT: 0
	.section	.text._ZN9rocsparseL26csrgemm_group_reduce_part1ILj256ELj11EilEEvT2_PT1_PS1_j,"axG",@progbits,_ZN9rocsparseL26csrgemm_group_reduce_part1ILj256ELj11EilEEvT2_PT1_PS1_j,comdat
	.globl	_ZN9rocsparseL26csrgemm_group_reduce_part1ILj256ELj11EilEEvT2_PT1_PS1_j ; -- Begin function _ZN9rocsparseL26csrgemm_group_reduce_part1ILj256ELj11EilEEvT2_PT1_PS1_j
	.p2align	8
	.type	_ZN9rocsparseL26csrgemm_group_reduce_part1ILj256ELj11EilEEvT2_PT1_PS1_j,@function
_ZN9rocsparseL26csrgemm_group_reduce_part1ILj256ELj11EilEEvT2_PT1_PS1_j: ; @_ZN9rocsparseL26csrgemm_group_reduce_part1ILj256ELj11EilEEvT2_PT1_PS1_j
; %bb.0:
	s_clause 0x1
	s_load_b64 s[4:5], s[0:1], 0x0
	s_load_b64 s[2:3], s[0:1], 0x10
	s_mov_b32 s7, 0
	v_mul_u32_u24_e32 v1, 11, v0
	s_mov_b32 s8, s7
	s_mov_b32 s9, s7
	v_dual_mov_b32 v3, 0 :: v_dual_mov_b32 v8, s8
	s_mov_b32 s6, s7
	s_delay_alu instid0(SALU_CYCLE_1) | instskip(NEXT) | instid1(VALU_DEP_2)
	v_dual_mov_b32 v6, s6 :: v_dual_lshlrev_b32 v5, 3, v1
	v_dual_mov_b32 v7, s7 :: v_dual_mov_b32 v2, v3
	v_dual_mov_b32 v9, s9 :: v_dual_mov_b32 v4, v3
	v_lshl_or_b32 v1, s15, 8, v0
	s_mov_b32 s10, exec_lo
	ds_store_2addr_b64 v5, v[6:7], v[8:9] offset1:1
	ds_store_2addr_b64 v5, v[6:7], v[8:9] offset0:2 offset1:3
	ds_store_2addr_b64 v5, v[6:7], v[8:9] offset0:4 offset1:5
	;; [unrolled: 1-line block ×4, first 2 shown]
	ds_store_b64 v5, v[3:4] offset:80
	s_waitcnt lgkmcnt(0)
	buffer_gl0_inv
	v_cmpx_gt_i64_e64 s[4:5], v[1:2]
	s_cbranch_execz .LBB16_21
; %bb.1:
	s_clause 0x2
	s_load_b32 s6, s[0:1], 0x18
	s_load_b64 s[8:9], s[0:1], 0x8
	s_load_b32 s0, s[0:1], 0x20
	v_lshlrev_b64 v[3:4], 2, v[1:2]
	v_add_nc_u32_e32 v6, 16, v5
	v_add_nc_u32_e32 v7, 32, v5
	v_add_nc_u32_e32 v8, 48, v5
	v_add_nc_u32_e32 v9, 64, v5
	v_add_nc_u32_e32 v10, 0x50, v5
	v_add_nc_u32_e32 v11, 8, v5
	v_add_nc_u32_e32 v12, 24, v5
	v_add_nc_u32_e32 v13, 40, v5
	v_add_nc_u32_e32 v14, 56, v5
	v_add_nc_u32_e32 v15, 0x48, v5
	s_waitcnt lgkmcnt(0)
	s_cmp_lt_u32 s6, 0x20000
	v_add_co_u32 v3, vcc_lo, s8, v3
	s_cselect_b32 s1, -1, 0
	s_cmp_lt_u32 s6, 0x40000
	v_add_co_ci_u32_e32 v4, vcc_lo, s9, v4, vcc_lo
	s_cselect_b32 s11, -1, 0
	s_cmp_lt_u32 s6, 0x80000
	s_cselect_b32 s12, -1, 0
	s_lshl_b32 s6, s0, 8
	s_delay_alu instid0(SALU_CYCLE_1)
	s_lshl_b64 s[8:9], s[6:7], 2
	s_branch .LBB16_11
.LBB16_2:                               ;   in Loop: Header=BB16_11 Depth=1
	s_or_b32 exec_lo, exec_lo, s21
.LBB16_3:                               ;   in Loop: Header=BB16_11 Depth=1
	s_delay_alu instid0(SALU_CYCLE_1)
	s_or_b32 exec_lo, exec_lo, s20
.LBB16_4:                               ;   in Loop: Header=BB16_11 Depth=1
	s_delay_alu instid0(SALU_CYCLE_1)
	s_or_b32 exec_lo, exec_lo, s19
.LBB16_5:                               ;   in Loop: Header=BB16_11 Depth=1
	s_delay_alu instid0(SALU_CYCLE_1)
	s_or_b32 exec_lo, exec_lo, s18
.LBB16_6:                               ;   in Loop: Header=BB16_11 Depth=1
	s_delay_alu instid0(SALU_CYCLE_1)
	s_or_b32 exec_lo, exec_lo, s17
.LBB16_7:                               ;   in Loop: Header=BB16_11 Depth=1
	s_delay_alu instid0(SALU_CYCLE_1)
	s_or_b32 exec_lo, exec_lo, s16
.LBB16_8:                               ;   in Loop: Header=BB16_11 Depth=1
	s_delay_alu instid0(SALU_CYCLE_1)
	s_or_b32 exec_lo, exec_lo, s14
.LBB16_9:                               ;   in Loop: Header=BB16_11 Depth=1
	s_delay_alu instid0(SALU_CYCLE_1)
	s_or_b32 exec_lo, exec_lo, s13
.LBB16_10:                              ;   in Loop: Header=BB16_11 Depth=1
	s_delay_alu instid0(SALU_CYCLE_1)
	s_or_b32 exec_lo, exec_lo, s0
	ds_load_b64 v[18:19], v17
	v_add_co_u32 v1, vcc_lo, v1, s6
	v_add_co_ci_u32_e32 v2, vcc_lo, 0, v2, vcc_lo
	global_store_b32 v[3:4], v16, off
	v_cmp_le_i64_e32 vcc_lo, s[4:5], v[1:2]
	s_or_b32 s7, vcc_lo, s7
	s_waitcnt lgkmcnt(0)
	v_add_co_u32 v18, s0, v18, 1
	s_delay_alu instid0(VALU_DEP_1) | instskip(SKIP_1) | instid1(VALU_DEP_1)
	v_add_co_ci_u32_e64 v19, s0, 0, v19, s0
	v_add_co_u32 v3, s0, v3, s8
	v_add_co_ci_u32_e64 v4, s0, s9, v4, s0
	ds_store_b64 v17, v[18:19]
	s_and_not1_b32 exec_lo, exec_lo, s7
	s_cbranch_execz .LBB16_21
.LBB16_11:                              ; =>This Inner Loop Header: Depth=1
	global_load_b32 v18, v[3:4], off
	v_dual_mov_b32 v16, 0 :: v_dual_mov_b32 v17, v5
	s_mov_b32 s0, exec_lo
	s_waitcnt vmcnt(0)
	v_cmpx_lt_i32_e32 32, v18
	s_cbranch_execz .LBB16_10
; %bb.12:                               ;   in Loop: Header=BB16_11 Depth=1
	v_dual_mov_b32 v16, 1 :: v_dual_mov_b32 v17, v11
	s_mov_b32 s13, exec_lo
	v_cmpx_lt_u32_e32 64, v18
	s_cbranch_execz .LBB16_9
; %bb.13:                               ;   in Loop: Header=BB16_11 Depth=1
	v_dual_mov_b32 v16, 2 :: v_dual_mov_b32 v17, v6
	s_mov_b32 s14, exec_lo
	v_cmpx_lt_u32_e32 0x200, v18
	;; [unrolled: 5-line block ×6, first 2 shown]
	s_cbranch_execz .LBB16_4
; %bb.18:                               ;   in Loop: Header=BB16_11 Depth=1
	v_cmp_lt_u32_e32 vcc_lo, 0x4000, v18
	v_dual_mov_b32 v16, 7 :: v_dual_mov_b32 v17, v14
	s_or_b32 s21, s1, vcc_lo
	s_delay_alu instid0(SALU_CYCLE_1)
	s_and_saveexec_b32 s20, s21
	s_cbranch_execz .LBB16_3
; %bb.19:                               ;   in Loop: Header=BB16_11 Depth=1
	v_cmp_lt_u32_e32 vcc_lo, 0x8000, v18
	v_dual_mov_b32 v16, 8 :: v_dual_mov_b32 v17, v9
	s_or_b32 s22, s11, vcc_lo
	s_delay_alu instid0(SALU_CYCLE_1)
	s_and_saveexec_b32 s21, s22
	s_cbranch_execz .LBB16_2
; %bb.20:                               ;   in Loop: Header=BB16_11 Depth=1
	v_cmp_lt_u32_e32 vcc_lo, 0x10000, v18
	s_or_b32 vcc_lo, s12, vcc_lo
	v_cndmask_b32_e32 v17, v15, v10, vcc_lo
	v_cndmask_b32_e64 v16, 9, 10, vcc_lo
	s_branch .LBB16_2
.LBB16_21:
	s_or_b32 exec_lo, exec_lo, s10
	s_delay_alu instid0(SALU_CYCLE_1)
	s_mov_b32 s0, exec_lo
	s_waitcnt lgkmcnt(0)
	s_waitcnt_vscnt null, 0x0
	s_barrier
	buffer_gl0_inv
	s_barrier
	buffer_gl0_inv
	s_barrier
	buffer_gl0_inv
	v_cmpx_gt_u32_e32 0x80, v0
	s_cbranch_execz .LBB16_23
; %bb.22:
	v_add_nc_u32_e32 v1, 0x2c00, v5
	v_add_nc_u32_e32 v14, 0x2c10, v5
	;; [unrolled: 1-line block ×5, first 2 shown]
	ds_load_2addr_b64 v[1:4], v1 offset1:1
	ds_load_2addr_b64 v[6:9], v5 offset1:1
	ds_load_2addr_b64 v[10:13], v5 offset0:2 offset1:3
	ds_load_2addr_b64 v[14:17], v14 offset1:1
	ds_load_2addr_b64 v[18:21], v5 offset0:4 offset1:5
	ds_load_2addr_b64 v[22:25], v5 offset0:6 offset1:7
	ds_load_2addr_b64 v[26:29], v26 offset1:1
	ds_load_2addr_b64 v[30:33], v30 offset1:1
	ds_load_2addr_b64 v[34:37], v5 offset0:8 offset1:9
	s_waitcnt lgkmcnt(7)
	v_add_co_u32 v38, vcc_lo, v6, v1
	v_add_co_ci_u32_e32 v39, vcc_lo, v7, v2, vcc_lo
	v_add_co_u32 v40, vcc_lo, v8, v3
	v_add_co_ci_u32_e32 v41, vcc_lo, v9, v4, vcc_lo
	ds_load_2addr_b64 v[1:4], v42 offset1:1
	v_add_nc_u32_e32 v6, 0x50, v5
	s_waitcnt lgkmcnt(6)
	v_add_co_u32 v10, vcc_lo, v10, v14
	v_add_co_ci_u32_e32 v11, vcc_lo, v11, v15, vcc_lo
	v_add_co_u32 v12, vcc_lo, v12, v16
	ds_load_2addr_stride64_b64 v[6:9], v6 offset1:22
	v_add_co_ci_u32_e32 v13, vcc_lo, v13, v17, vcc_lo
	s_waitcnt lgkmcnt(4)
	v_add_co_u32 v14, vcc_lo, v18, v26
	v_add_co_ci_u32_e32 v15, vcc_lo, v19, v27, vcc_lo
	v_add_co_u32 v16, vcc_lo, v20, v28
	v_add_co_ci_u32_e32 v17, vcc_lo, v21, v29, vcc_lo
	s_waitcnt lgkmcnt(3)
	v_add_co_u32 v18, vcc_lo, v22, v30
	v_add_co_ci_u32_e32 v19, vcc_lo, v23, v31, vcc_lo
	v_add_co_u32 v20, vcc_lo, v24, v32
	;; [unrolled: 5-line block ×3, first 2 shown]
	v_add_co_ci_u32_e32 v4, vcc_lo, v37, v4, vcc_lo
	s_waitcnt lgkmcnt(0)
	v_add_co_u32 v6, vcc_lo, v6, v8
	v_add_co_ci_u32_e32 v7, vcc_lo, v7, v9, vcc_lo
	ds_store_2addr_b64 v5, v[38:39], v[40:41] offset1:1
	ds_store_2addr_b64 v5, v[10:11], v[12:13] offset0:2 offset1:3
	ds_store_2addr_b64 v5, v[14:15], v[16:17] offset0:4 offset1:5
	;; [unrolled: 1-line block ×4, first 2 shown]
	ds_store_b64 v5, v[6:7] offset:80
.LBB16_23:
	s_or_b32 exec_lo, exec_lo, s0
	s_delay_alu instid0(SALU_CYCLE_1)
	s_mov_b32 s0, exec_lo
	s_waitcnt lgkmcnt(0)
	s_barrier
	buffer_gl0_inv
	v_cmpx_gt_u32_e32 64, v0
	s_cbranch_execz .LBB16_25
; %bb.24:
	v_add_nc_u32_e32 v1, 0x1600, v5
	v_add_nc_u32_e32 v14, 0x1610, v5
	;; [unrolled: 1-line block ×5, first 2 shown]
	ds_load_2addr_b64 v[1:4], v1 offset1:1
	ds_load_2addr_b64 v[6:9], v5 offset1:1
	ds_load_2addr_b64 v[10:13], v5 offset0:2 offset1:3
	ds_load_2addr_b64 v[14:17], v14 offset1:1
	ds_load_2addr_b64 v[18:21], v5 offset0:4 offset1:5
	ds_load_2addr_b64 v[22:25], v5 offset0:6 offset1:7
	ds_load_2addr_b64 v[26:29], v26 offset1:1
	ds_load_2addr_b64 v[30:33], v30 offset1:1
	ds_load_2addr_b64 v[34:37], v5 offset0:8 offset1:9
	s_waitcnt lgkmcnt(7)
	v_add_co_u32 v38, vcc_lo, v6, v1
	v_add_co_ci_u32_e32 v39, vcc_lo, v7, v2, vcc_lo
	v_add_co_u32 v40, vcc_lo, v8, v3
	v_add_co_ci_u32_e32 v41, vcc_lo, v9, v4, vcc_lo
	ds_load_2addr_b64 v[1:4], v42 offset1:1
	v_add_nc_u32_e32 v6, 0x50, v5
	s_waitcnt lgkmcnt(6)
	v_add_co_u32 v10, vcc_lo, v10, v14
	v_add_co_ci_u32_e32 v11, vcc_lo, v11, v15, vcc_lo
	v_add_co_u32 v12, vcc_lo, v12, v16
	ds_load_2addr_stride64_b64 v[6:9], v6 offset1:11
	v_add_co_ci_u32_e32 v13, vcc_lo, v13, v17, vcc_lo
	s_waitcnt lgkmcnt(4)
	v_add_co_u32 v14, vcc_lo, v18, v26
	v_add_co_ci_u32_e32 v15, vcc_lo, v19, v27, vcc_lo
	v_add_co_u32 v16, vcc_lo, v20, v28
	v_add_co_ci_u32_e32 v17, vcc_lo, v21, v29, vcc_lo
	s_waitcnt lgkmcnt(3)
	v_add_co_u32 v18, vcc_lo, v22, v30
	v_add_co_ci_u32_e32 v19, vcc_lo, v23, v31, vcc_lo
	v_add_co_u32 v20, vcc_lo, v24, v32
	;; [unrolled: 5-line block ×3, first 2 shown]
	v_add_co_ci_u32_e32 v4, vcc_lo, v37, v4, vcc_lo
	s_waitcnt lgkmcnt(0)
	v_add_co_u32 v6, vcc_lo, v6, v8
	v_add_co_ci_u32_e32 v7, vcc_lo, v7, v9, vcc_lo
	ds_store_2addr_b64 v5, v[38:39], v[40:41] offset1:1
	ds_store_2addr_b64 v5, v[10:11], v[12:13] offset0:2 offset1:3
	ds_store_2addr_b64 v5, v[14:15], v[16:17] offset0:4 offset1:5
	;; [unrolled: 1-line block ×4, first 2 shown]
	ds_store_b64 v5, v[6:7] offset:80
.LBB16_25:
	s_or_b32 exec_lo, exec_lo, s0
	s_delay_alu instid0(SALU_CYCLE_1)
	s_mov_b32 s0, exec_lo
	s_waitcnt lgkmcnt(0)
	s_barrier
	buffer_gl0_inv
	v_cmpx_gt_u32_e32 32, v0
	s_cbranch_execz .LBB16_27
; %bb.26:
	v_add_nc_u32_e32 v1, 0xb00, v5
	v_add_nc_u32_e32 v14, 0xb10, v5
	v_add_nc_u32_e32 v26, 0xb20, v5
	v_add_nc_u32_e32 v30, 0xb30, v5
	v_add_nc_u32_e32 v40, 0xb40, v5
	ds_load_2addr_b64 v[1:4], v1 offset1:1
	ds_load_2addr_b64 v[6:9], v5 offset1:1
	ds_load_2addr_b64 v[10:13], v5 offset0:2 offset1:3
	ds_load_2addr_b64 v[14:17], v14 offset1:1
	ds_load_2addr_b64 v[18:21], v5 offset0:4 offset1:5
	ds_load_2addr_b64 v[22:25], v5 offset0:6 offset1:7
	ds_load_2addr_b64 v[26:29], v26 offset1:1
	ds_load_2addr_b64 v[30:33], v30 offset1:1
	ds_load_b64 v[34:35], v5 offset:2896
	s_waitcnt lgkmcnt(7)
	v_add_co_u32 v36, vcc_lo, v6, v1
	v_add_co_ci_u32_e32 v37, vcc_lo, v7, v2, vcc_lo
	v_add_co_u32 v38, vcc_lo, v8, v3
	v_add_co_ci_u32_e32 v39, vcc_lo, v9, v4, vcc_lo
	ds_load_2addr_b64 v[1:4], v40 offset1:1
	ds_load_2addr_b64 v[6:9], v5 offset0:8 offset1:9
	s_waitcnt lgkmcnt(7)
	v_add_co_u32 v10, vcc_lo, v10, v14
	v_add_co_ci_u32_e32 v11, vcc_lo, v11, v15, vcc_lo
	v_add_co_u32 v12, vcc_lo, v12, v16
	v_add_co_ci_u32_e32 v13, vcc_lo, v13, v17, vcc_lo
	ds_load_b64 v[16:17], v5 offset:80
	s_waitcnt lgkmcnt(5)
	v_add_co_u32 v14, vcc_lo, v18, v26
	v_add_co_ci_u32_e32 v15, vcc_lo, v19, v27, vcc_lo
	v_add_co_u32 v18, vcc_lo, v20, v28
	v_add_co_ci_u32_e32 v19, vcc_lo, v21, v29, vcc_lo
	s_waitcnt lgkmcnt(4)
	v_add_co_u32 v20, vcc_lo, v22, v30
	v_add_co_ci_u32_e32 v21, vcc_lo, v23, v31, vcc_lo
	v_add_co_u32 v22, vcc_lo, v24, v32
	v_add_co_ci_u32_e32 v23, vcc_lo, v25, v33, vcc_lo
	s_waitcnt lgkmcnt(1)
	v_add_co_u32 v1, vcc_lo, v6, v1
	v_add_co_ci_u32_e32 v2, vcc_lo, v7, v2, vcc_lo
	v_add_co_u32 v3, vcc_lo, v8, v3
	v_add_co_ci_u32_e32 v4, vcc_lo, v9, v4, vcc_lo
	s_waitcnt lgkmcnt(0)
	v_add_co_u32 v6, vcc_lo, v16, v34
	v_add_co_ci_u32_e32 v7, vcc_lo, v17, v35, vcc_lo
	ds_store_2addr_b64 v5, v[36:37], v[38:39] offset1:1
	ds_store_2addr_b64 v5, v[10:11], v[12:13] offset0:2 offset1:3
	ds_store_2addr_b64 v5, v[14:15], v[18:19] offset0:4 offset1:5
	;; [unrolled: 1-line block ×4, first 2 shown]
	ds_store_b64 v5, v[6:7] offset:80
.LBB16_27:
	s_or_b32 exec_lo, exec_lo, s0
	s_delay_alu instid0(SALU_CYCLE_1)
	s_mov_b32 s0, exec_lo
	s_waitcnt lgkmcnt(0)
	s_barrier
	buffer_gl0_inv
	v_cmpx_gt_u32_e32 16, v0
	s_cbranch_execz .LBB16_29
; %bb.28:
	ds_load_2addr_b64 v[1:4], v5 offset0:176 offset1:177
	ds_load_2addr_b64 v[6:9], v5 offset1:1
	ds_load_2addr_b64 v[10:13], v5 offset0:2 offset1:3
	ds_load_2addr_b64 v[14:17], v5 offset0:178 offset1:179
	ds_load_2addr_b64 v[18:21], v5 offset0:180 offset1:181
	ds_load_2addr_b64 v[22:25], v5 offset0:182 offset1:183
	ds_load_2addr_b64 v[26:29], v5 offset0:4 offset1:5
	ds_load_2addr_b64 v[30:33], v5 offset0:6 offset1:7
	ds_load_2addr_b64 v[34:37], v5 offset0:8 offset1:9
	s_waitcnt lgkmcnt(7)
	v_add_co_u32 v38, vcc_lo, v6, v1
	v_add_co_ci_u32_e32 v39, vcc_lo, v7, v2, vcc_lo
	v_add_co_u32 v40, vcc_lo, v8, v3
	v_add_co_ci_u32_e32 v41, vcc_lo, v9, v4, vcc_lo
	ds_load_2addr_b64 v[1:4], v5 offset0:184 offset1:185
	s_waitcnt lgkmcnt(6)
	v_add_co_u32 v10, vcc_lo, v10, v14
	v_add_co_ci_u32_e32 v11, vcc_lo, v11, v15, vcc_lo
	v_add_co_u32 v12, vcc_lo, v12, v16
	ds_load_2addr_b64 v[6:9], v5 offset0:10 offset1:186
	v_add_co_ci_u32_e32 v13, vcc_lo, v13, v17, vcc_lo
	s_waitcnt lgkmcnt(4)
	v_add_co_u32 v14, vcc_lo, v26, v18
	v_add_co_ci_u32_e32 v15, vcc_lo, v27, v19, vcc_lo
	v_add_co_u32 v16, vcc_lo, v28, v20
	v_add_co_ci_u32_e32 v17, vcc_lo, v29, v21, vcc_lo
	s_waitcnt lgkmcnt(3)
	v_add_co_u32 v18, vcc_lo, v30, v22
	v_add_co_ci_u32_e32 v19, vcc_lo, v31, v23, vcc_lo
	v_add_co_u32 v20, vcc_lo, v32, v24
	v_add_co_ci_u32_e32 v21, vcc_lo, v33, v25, vcc_lo
	s_waitcnt lgkmcnt(1)
	v_add_co_u32 v1, vcc_lo, v34, v1
	v_add_co_ci_u32_e32 v2, vcc_lo, v35, v2, vcc_lo
	v_add_co_u32 v3, vcc_lo, v36, v3
	v_add_co_ci_u32_e32 v4, vcc_lo, v37, v4, vcc_lo
	s_waitcnt lgkmcnt(0)
	v_add_co_u32 v6, vcc_lo, v6, v8
	v_add_co_ci_u32_e32 v7, vcc_lo, v7, v9, vcc_lo
	ds_store_2addr_b64 v5, v[38:39], v[40:41] offset1:1
	ds_store_2addr_b64 v5, v[10:11], v[12:13] offset0:2 offset1:3
	ds_store_2addr_b64 v5, v[14:15], v[16:17] offset0:4 offset1:5
	ds_store_2addr_b64 v5, v[18:19], v[20:21] offset0:6 offset1:7
	ds_store_2addr_b64 v5, v[1:2], v[3:4] offset0:8 offset1:9
	ds_store_b64 v5, v[6:7] offset:80
.LBB16_29:
	s_or_b32 exec_lo, exec_lo, s0
	s_delay_alu instid0(SALU_CYCLE_1)
	s_mov_b32 s0, exec_lo
	s_waitcnt lgkmcnt(0)
	s_barrier
	buffer_gl0_inv
	v_cmpx_gt_u32_e32 8, v0
	s_cbranch_execz .LBB16_31
; %bb.30:
	ds_load_2addr_b64 v[1:4], v5 offset0:88 offset1:89
	ds_load_2addr_b64 v[6:9], v5 offset1:1
	ds_load_2addr_b64 v[10:13], v5 offset0:2 offset1:3
	ds_load_2addr_b64 v[14:17], v5 offset0:90 offset1:91
	ds_load_2addr_b64 v[18:21], v5 offset0:92 offset1:93
	ds_load_2addr_b64 v[22:25], v5 offset0:94 offset1:95
	ds_load_2addr_b64 v[26:29], v5 offset0:4 offset1:5
	ds_load_2addr_b64 v[30:33], v5 offset0:6 offset1:7
	ds_load_2addr_b64 v[34:37], v5 offset0:8 offset1:9
	s_waitcnt lgkmcnt(7)
	v_add_co_u32 v38, vcc_lo, v6, v1
	v_add_co_ci_u32_e32 v39, vcc_lo, v7, v2, vcc_lo
	v_add_co_u32 v40, vcc_lo, v8, v3
	v_add_co_ci_u32_e32 v41, vcc_lo, v9, v4, vcc_lo
	ds_load_2addr_b64 v[1:4], v5 offset0:96 offset1:97
	s_waitcnt lgkmcnt(6)
	v_add_co_u32 v10, vcc_lo, v10, v14
	v_add_co_ci_u32_e32 v11, vcc_lo, v11, v15, vcc_lo
	v_add_co_u32 v12, vcc_lo, v12, v16
	ds_load_2addr_b64 v[6:9], v5 offset0:10 offset1:98
	v_add_co_ci_u32_e32 v13, vcc_lo, v13, v17, vcc_lo
	s_waitcnt lgkmcnt(4)
	v_add_co_u32 v14, vcc_lo, v26, v18
	v_add_co_ci_u32_e32 v15, vcc_lo, v27, v19, vcc_lo
	v_add_co_u32 v16, vcc_lo, v28, v20
	v_add_co_ci_u32_e32 v17, vcc_lo, v29, v21, vcc_lo
	s_waitcnt lgkmcnt(3)
	v_add_co_u32 v18, vcc_lo, v30, v22
	v_add_co_ci_u32_e32 v19, vcc_lo, v31, v23, vcc_lo
	v_add_co_u32 v20, vcc_lo, v32, v24
	v_add_co_ci_u32_e32 v21, vcc_lo, v33, v25, vcc_lo
	s_waitcnt lgkmcnt(1)
	v_add_co_u32 v1, vcc_lo, v34, v1
	v_add_co_ci_u32_e32 v2, vcc_lo, v35, v2, vcc_lo
	v_add_co_u32 v3, vcc_lo, v36, v3
	v_add_co_ci_u32_e32 v4, vcc_lo, v37, v4, vcc_lo
	s_waitcnt lgkmcnt(0)
	v_add_co_u32 v6, vcc_lo, v6, v8
	v_add_co_ci_u32_e32 v7, vcc_lo, v7, v9, vcc_lo
	ds_store_2addr_b64 v5, v[38:39], v[40:41] offset1:1
	ds_store_2addr_b64 v5, v[10:11], v[12:13] offset0:2 offset1:3
	ds_store_2addr_b64 v5, v[14:15], v[16:17] offset0:4 offset1:5
	ds_store_2addr_b64 v5, v[18:19], v[20:21] offset0:6 offset1:7
	ds_store_2addr_b64 v5, v[1:2], v[3:4] offset0:8 offset1:9
	ds_store_b64 v5, v[6:7] offset:80
.LBB16_31:
	;; [unrolled: 55-line block ×4, first 2 shown]
	s_or_b32 exec_lo, exec_lo, s0
	s_delay_alu instid0(SALU_CYCLE_1)
	s_mov_b32 s0, exec_lo
	s_waitcnt lgkmcnt(0)
	s_barrier
	buffer_gl0_inv
	v_cmpx_eq_u32_e32 0, v0
	s_cbranch_execz .LBB16_37
; %bb.36:
	v_mov_b32_e32 v41, 0
	ds_load_b128 v[1:4], v41 offset:80
	ds_load_b128 v[5:8], v41
	ds_load_b128 v[9:12], v41 offset:96
	ds_load_b128 v[13:16], v41 offset:16
	;; [unrolled: 1-line block ×8, first 2 shown]
	s_waitcnt lgkmcnt(8)
	v_add_co_u32 v3, vcc_lo, v5, v3
	v_add_co_ci_u32_e32 v4, vcc_lo, v6, v4, vcc_lo
	s_waitcnt lgkmcnt(7)
	v_add_co_u32 v5, vcc_lo, v7, v9
	v_add_co_ci_u32_e32 v6, vcc_lo, v8, v10, vcc_lo
	;; [unrolled: 3-line block ×3, first 2 shown]
	ds_load_b128 v[11:14], v41 offset:160
	s_waitcnt lgkmcnt(6)
	v_add_co_u32 v9, vcc_lo, v15, v17
	v_add_co_ci_u32_e32 v10, vcc_lo, v16, v18, vcc_lo
	s_waitcnt lgkmcnt(5)
	v_add_co_u32 v15, vcc_lo, v21, v19
	v_add_co_ci_u32_e32 v16, vcc_lo, v22, v20, vcc_lo
	;; [unrolled: 3-line block ×3, first 2 shown]
	v_add_co_u32 v19, vcc_lo, v25, v31
	v_add_co_ci_u32_e32 v20, vcc_lo, v26, v32, vcc_lo
	s_waitcnt lgkmcnt(2)
	v_add_co_u32 v21, vcc_lo, v27, v33
	v_add_co_ci_u32_e32 v22, vcc_lo, v28, v34, vcc_lo
	s_waitcnt lgkmcnt(1)
	;; [unrolled: 3-line block ×3, first 2 shown]
	v_add_co_u32 v25, vcc_lo, v39, v11
	v_add_co_ci_u32_e32 v26, vcc_lo, v40, v12, vcc_lo
	v_add_co_u32 v1, vcc_lo, v1, v13
	v_add_co_ci_u32_e32 v2, vcc_lo, v2, v14, vcc_lo
	ds_store_b128 v41, v[3:6]
	ds_store_b128 v41, v[7:10] offset:16
	ds_store_b128 v41, v[15:18] offset:32
	;; [unrolled: 1-line block ×4, first 2 shown]
	ds_store_b64 v41, v[1:2] offset:80
.LBB16_37:
	s_or_b32 exec_lo, exec_lo, s0
	s_waitcnt lgkmcnt(0)
	s_barrier
	buffer_gl0_inv
	s_mov_b32 s0, exec_lo
	v_cmpx_gt_u32_e32 11, v0
	s_cbranch_execz .LBB16_39
; %bb.38:
	v_lshlrev_b32_e32 v3, 3, v0
	v_mad_u64_u32 v[1:2], null, s15, 11, v[0:1]
	v_mov_b32_e32 v2, 0
	ds_load_b64 v[3:4], v3
	v_lshlrev_b64 v[0:1], 3, v[1:2]
	s_delay_alu instid0(VALU_DEP_1) | instskip(NEXT) | instid1(VALU_DEP_2)
	v_add_co_u32 v0, vcc_lo, s2, v0
	v_add_co_ci_u32_e32 v1, vcc_lo, s3, v1, vcc_lo
	s_waitcnt lgkmcnt(0)
	global_store_b64 v[0:1], v[3:4], off
.LBB16_39:
	s_nop 0
	s_sendmsg sendmsg(MSG_DEALLOC_VGPRS)
	s_endpgm
	.section	.rodata,"a",@progbits
	.p2align	6, 0x0
	.amdhsa_kernel _ZN9rocsparseL26csrgemm_group_reduce_part1ILj256ELj11EilEEvT2_PT1_PS1_j
		.amdhsa_group_segment_fixed_size 22528
		.amdhsa_private_segment_fixed_size 0
		.amdhsa_kernarg_size 288
		.amdhsa_user_sgpr_count 15
		.amdhsa_user_sgpr_dispatch_ptr 0
		.amdhsa_user_sgpr_queue_ptr 0
		.amdhsa_user_sgpr_kernarg_segment_ptr 1
		.amdhsa_user_sgpr_dispatch_id 0
		.amdhsa_user_sgpr_private_segment_size 0
		.amdhsa_wavefront_size32 1
		.amdhsa_uses_dynamic_stack 0
		.amdhsa_enable_private_segment 0
		.amdhsa_system_sgpr_workgroup_id_x 1
		.amdhsa_system_sgpr_workgroup_id_y 0
		.amdhsa_system_sgpr_workgroup_id_z 0
		.amdhsa_system_sgpr_workgroup_info 0
		.amdhsa_system_vgpr_workitem_id 0
		.amdhsa_next_free_vgpr 43
		.amdhsa_next_free_sgpr 23
		.amdhsa_reserve_vcc 1
		.amdhsa_float_round_mode_32 0
		.amdhsa_float_round_mode_16_64 0
		.amdhsa_float_denorm_mode_32 3
		.amdhsa_float_denorm_mode_16_64 3
		.amdhsa_dx10_clamp 1
		.amdhsa_ieee_mode 1
		.amdhsa_fp16_overflow 0
		.amdhsa_workgroup_processor_mode 1
		.amdhsa_memory_ordered 1
		.amdhsa_forward_progress 0
		.amdhsa_shared_vgpr_count 0
		.amdhsa_exception_fp_ieee_invalid_op 0
		.amdhsa_exception_fp_denorm_src 0
		.amdhsa_exception_fp_ieee_div_zero 0
		.amdhsa_exception_fp_ieee_overflow 0
		.amdhsa_exception_fp_ieee_underflow 0
		.amdhsa_exception_fp_ieee_inexact 0
		.amdhsa_exception_int_div_zero 0
	.end_amdhsa_kernel
	.section	.text._ZN9rocsparseL26csrgemm_group_reduce_part1ILj256ELj11EilEEvT2_PT1_PS1_j,"axG",@progbits,_ZN9rocsparseL26csrgemm_group_reduce_part1ILj256ELj11EilEEvT2_PT1_PS1_j,comdat
.Lfunc_end16:
	.size	_ZN9rocsparseL26csrgemm_group_reduce_part1ILj256ELj11EilEEvT2_PT1_PS1_j, .Lfunc_end16-_ZN9rocsparseL26csrgemm_group_reduce_part1ILj256ELj11EilEEvT2_PT1_PS1_j
                                        ; -- End function
	.section	.AMDGPU.csdata,"",@progbits
; Kernel info:
; codeLenInByte = 3656
; NumSgprs: 25
; NumVgprs: 43
; ScratchSize: 0
; MemoryBound: 0
; FloatMode: 240
; IeeeMode: 1
; LDSByteSize: 22528 bytes/workgroup (compile time only)
; SGPRBlocks: 3
; VGPRBlocks: 5
; NumSGPRsForWavesPerEU: 25
; NumVGPRsForWavesPerEU: 43
; Occupancy: 10
; WaveLimiterHint : 0
; COMPUTE_PGM_RSRC2:SCRATCH_EN: 0
; COMPUTE_PGM_RSRC2:USER_SGPR: 15
; COMPUTE_PGM_RSRC2:TRAP_HANDLER: 0
; COMPUTE_PGM_RSRC2:TGID_X_EN: 1
; COMPUTE_PGM_RSRC2:TGID_Y_EN: 0
; COMPUTE_PGM_RSRC2:TGID_Z_EN: 0
; COMPUTE_PGM_RSRC2:TIDIG_COMP_CNT: 0
	.section	.text._ZN9rocsparseL26csrgemm_group_reduce_part3ILj256ELj11ElEEvPT1_,"axG",@progbits,_ZN9rocsparseL26csrgemm_group_reduce_part3ILj256ELj11ElEEvPT1_,comdat
	.globl	_ZN9rocsparseL26csrgemm_group_reduce_part3ILj256ELj11ElEEvPT1_ ; -- Begin function _ZN9rocsparseL26csrgemm_group_reduce_part3ILj256ELj11ElEEvPT1_
	.p2align	8
	.type	_ZN9rocsparseL26csrgemm_group_reduce_part3ILj256ELj11ElEEvPT1_,@function
_ZN9rocsparseL26csrgemm_group_reduce_part3ILj256ELj11ElEEvPT1_: ; @_ZN9rocsparseL26csrgemm_group_reduce_part3ILj256ELj11ElEEvPT1_
; %bb.0:
	s_load_b64 s[2:3], s[0:1], 0x0
	v_lshlrev_b32_e32 v3, 3, v0
	v_or_b32_e32 v4, 0xffffff00, v0
	s_mov_b32 s1, 0
	s_waitcnt lgkmcnt(0)
	s_delay_alu instid0(VALU_DEP_2) | instskip(NEXT) | instid1(VALU_DEP_1)
	v_add_co_u32 v1, s0, s2, v3
	v_add_co_ci_u32_e64 v2, null, s3, 0, s0
	.p2align	6
.LBB17_1:                               ; =>This Inner Loop Header: Depth=1
	global_load_b64 v[5:6], v[1:2], off
	v_add_nc_u32_e32 v4, 0x100, v4
	v_add_co_u32 v1, vcc_lo, 0x800, v1
	v_add_co_ci_u32_e32 v2, vcc_lo, 0, v2, vcc_lo
	s_delay_alu instid0(VALU_DEP_3) | instskip(NEXT) | instid1(VALU_DEP_1)
	v_cmp_lt_u32_e64 s0, 0x9ff, v4
	s_or_b32 s1, s0, s1
	s_waitcnt vmcnt(0)
	ds_store_b64 v3, v[5:6]
	v_add_nc_u32_e32 v3, 0x800, v3
	s_and_not1_b32 exec_lo, exec_lo, s1
	s_cbranch_execnz .LBB17_1
; %bb.2:
	s_or_b32 exec_lo, exec_lo, s1
	v_mul_u32_u24_e32 v1, 0x58, v0
	s_mov_b32 s0, exec_lo
	s_waitcnt lgkmcnt(0)
	s_barrier
	buffer_gl0_inv
	s_barrier
	buffer_gl0_inv
	;; [unrolled: 2-line block ×3, first 2 shown]
	v_cmpx_gt_u32_e32 0x80, v0
	s_cbranch_execz .LBB17_4
; %bb.3:
	s_movk_i32 s1, 0x2c00
	ds_load_2addr_b64 v[2:5], v1 offset1:1
	v_mad_u32_u24 v6, 0x58, v0, s1
	s_movk_i32 s1, 0x2c10
	s_movk_i32 s4, 0x2c30
	v_mad_u32_u24 v10, 0x58, v0, s1
	s_movk_i32 s1, 0x2c20
	ds_load_2addr_b64 v[6:9], v6 offset1:1
	s_movk_i32 s5, 0x2c40
	ds_load_2addr_b64 v[10:13], v10 offset1:1
	ds_load_2addr_b64 v[14:17], v1 offset0:2 offset1:3
	v_mad_u32_u24 v26, 0x58, v0, s1
	v_mad_u32_u24 v30, 0x58, v0, s4
	;; [unrolled: 1-line block ×3, first 2 shown]
	ds_load_2addr_b64 v[18:21], v1 offset0:4 offset1:5
	ds_load_2addr_b64 v[22:25], v1 offset0:6 offset1:7
	ds_load_2addr_b64 v[26:29], v26 offset1:1
	ds_load_2addr_b64 v[30:33], v30 offset1:1
	;; [unrolled: 1-line block ×3, first 2 shown]
	s_waitcnt lgkmcnt(7)
	v_add_co_u32 v38, vcc_lo, v2, v6
	v_add_co_ci_u32_e32 v39, vcc_lo, v3, v7, vcc_lo
	v_add_co_u32 v40, vcc_lo, v4, v8
	v_add_co_ci_u32_e32 v41, vcc_lo, v5, v9, vcc_lo
	ds_load_2addr_b64 v[2:5], v1 offset0:8 offset1:9
	v_add_nc_u32_e32 v6, 0x50, v1
	s_waitcnt lgkmcnt(6)
	v_add_co_u32 v10, vcc_lo, v14, v10
	v_add_co_ci_u32_e32 v11, vcc_lo, v15, v11, vcc_lo
	v_add_co_u32 v12, vcc_lo, v16, v12
	ds_load_2addr_stride64_b64 v[6:9], v6 offset1:22
	v_add_co_ci_u32_e32 v13, vcc_lo, v17, v13, vcc_lo
	s_waitcnt lgkmcnt(4)
	v_add_co_u32 v14, vcc_lo, v18, v26
	v_add_co_ci_u32_e32 v15, vcc_lo, v19, v27, vcc_lo
	v_add_co_u32 v16, vcc_lo, v20, v28
	v_add_co_ci_u32_e32 v17, vcc_lo, v21, v29, vcc_lo
	s_waitcnt lgkmcnt(3)
	v_add_co_u32 v18, vcc_lo, v22, v30
	v_add_co_ci_u32_e32 v19, vcc_lo, v23, v31, vcc_lo
	v_add_co_u32 v20, vcc_lo, v24, v32
	;; [unrolled: 5-line block ×3, first 2 shown]
	v_add_co_ci_u32_e32 v5, vcc_lo, v5, v37, vcc_lo
	s_waitcnt lgkmcnt(0)
	v_add_co_u32 v6, vcc_lo, v6, v8
	v_add_co_ci_u32_e32 v7, vcc_lo, v7, v9, vcc_lo
	ds_store_2addr_b64 v1, v[38:39], v[40:41] offset1:1
	ds_store_2addr_b64 v1, v[10:11], v[12:13] offset0:2 offset1:3
	ds_store_2addr_b64 v1, v[14:15], v[16:17] offset0:4 offset1:5
	;; [unrolled: 1-line block ×4, first 2 shown]
	ds_store_b64 v1, v[6:7] offset:80
.LBB17_4:
	s_or_b32 exec_lo, exec_lo, s0
	s_delay_alu instid0(SALU_CYCLE_1)
	s_mov_b32 s0, exec_lo
	s_waitcnt lgkmcnt(0)
	s_barrier
	buffer_gl0_inv
	v_cmpx_gt_u32_e32 64, v0
	s_cbranch_execz .LBB17_6
; %bb.5:
	s_movk_i32 s1, 0x1600
	ds_load_2addr_b64 v[2:5], v1 offset1:1
	v_mad_u32_u24 v6, 0x58, v0, s1
	s_movk_i32 s1, 0x1610
	s_movk_i32 s4, 0x1630
	v_mad_u32_u24 v10, 0x58, v0, s1
	s_movk_i32 s1, 0x1620
	ds_load_2addr_b64 v[6:9], v6 offset1:1
	s_movk_i32 s5, 0x1640
	ds_load_2addr_b64 v[10:13], v10 offset1:1
	ds_load_2addr_b64 v[14:17], v1 offset0:2 offset1:3
	v_mad_u32_u24 v26, 0x58, v0, s1
	v_mad_u32_u24 v30, 0x58, v0, s4
	;; [unrolled: 1-line block ×3, first 2 shown]
	ds_load_2addr_b64 v[18:21], v1 offset0:4 offset1:5
	ds_load_2addr_b64 v[22:25], v1 offset0:6 offset1:7
	ds_load_2addr_b64 v[26:29], v26 offset1:1
	ds_load_2addr_b64 v[30:33], v30 offset1:1
	ds_load_2addr_b64 v[34:37], v34 offset1:1
	s_waitcnt lgkmcnt(7)
	v_add_co_u32 v38, vcc_lo, v2, v6
	v_add_co_ci_u32_e32 v39, vcc_lo, v3, v7, vcc_lo
	v_add_co_u32 v40, vcc_lo, v4, v8
	v_add_co_ci_u32_e32 v41, vcc_lo, v5, v9, vcc_lo
	ds_load_2addr_b64 v[2:5], v1 offset0:8 offset1:9
	v_add_nc_u32_e32 v6, 0x50, v1
	s_waitcnt lgkmcnt(6)
	v_add_co_u32 v10, vcc_lo, v14, v10
	v_add_co_ci_u32_e32 v11, vcc_lo, v15, v11, vcc_lo
	v_add_co_u32 v12, vcc_lo, v16, v12
	ds_load_2addr_stride64_b64 v[6:9], v6 offset1:11
	v_add_co_ci_u32_e32 v13, vcc_lo, v17, v13, vcc_lo
	s_waitcnt lgkmcnt(4)
	v_add_co_u32 v14, vcc_lo, v18, v26
	v_add_co_ci_u32_e32 v15, vcc_lo, v19, v27, vcc_lo
	v_add_co_u32 v16, vcc_lo, v20, v28
	v_add_co_ci_u32_e32 v17, vcc_lo, v21, v29, vcc_lo
	s_waitcnt lgkmcnt(3)
	v_add_co_u32 v18, vcc_lo, v22, v30
	v_add_co_ci_u32_e32 v19, vcc_lo, v23, v31, vcc_lo
	v_add_co_u32 v20, vcc_lo, v24, v32
	;; [unrolled: 5-line block ×3, first 2 shown]
	v_add_co_ci_u32_e32 v5, vcc_lo, v5, v37, vcc_lo
	s_waitcnt lgkmcnt(0)
	v_add_co_u32 v6, vcc_lo, v6, v8
	v_add_co_ci_u32_e32 v7, vcc_lo, v7, v9, vcc_lo
	ds_store_2addr_b64 v1, v[38:39], v[40:41] offset1:1
	ds_store_2addr_b64 v1, v[10:11], v[12:13] offset0:2 offset1:3
	ds_store_2addr_b64 v1, v[14:15], v[16:17] offset0:4 offset1:5
	;; [unrolled: 1-line block ×4, first 2 shown]
	ds_store_b64 v1, v[6:7] offset:80
.LBB17_6:
	s_or_b32 exec_lo, exec_lo, s0
	s_delay_alu instid0(SALU_CYCLE_1)
	s_mov_b32 s0, exec_lo
	s_waitcnt lgkmcnt(0)
	s_barrier
	buffer_gl0_inv
	v_cmpx_gt_u32_e32 32, v0
	s_cbranch_execz .LBB17_8
; %bb.7:
	s_movk_i32 s1, 0xb00
	ds_load_2addr_b64 v[2:5], v1 offset1:1
	v_mad_u32_u24 v6, 0x58, v0, s1
	s_movk_i32 s1, 0xb10
	s_movk_i32 s4, 0xb30
	v_mad_u32_u24 v10, 0x58, v0, s1
	s_movk_i32 s1, 0xb20
	ds_load_2addr_b64 v[6:9], v6 offset1:1
	s_movk_i32 s5, 0xb40
	ds_load_2addr_b64 v[10:13], v10 offset1:1
	ds_load_2addr_b64 v[14:17], v1 offset0:2 offset1:3
	v_mad_u32_u24 v26, 0x58, v0, s1
	v_mad_u32_u24 v30, 0x58, v0, s4
	;; [unrolled: 1-line block ×3, first 2 shown]
	ds_load_2addr_b64 v[18:21], v1 offset0:4 offset1:5
	ds_load_2addr_b64 v[22:25], v1 offset0:6 offset1:7
	ds_load_2addr_b64 v[26:29], v26 offset1:1
	ds_load_2addr_b64 v[30:33], v30 offset1:1
	ds_load_2addr_b64 v[34:37], v34 offset1:1
	s_waitcnt lgkmcnt(7)
	v_add_co_u32 v6, vcc_lo, v2, v6
	v_add_co_ci_u32_e32 v7, vcc_lo, v3, v7, vcc_lo
	v_add_co_u32 v8, vcc_lo, v4, v8
	v_add_co_ci_u32_e32 v9, vcc_lo, v5, v9, vcc_lo
	s_waitcnt lgkmcnt(5)
	v_add_co_u32 v10, vcc_lo, v14, v10
	v_add_co_ci_u32_e32 v11, vcc_lo, v15, v11, vcc_lo
	ds_load_2addr_b64 v[2:5], v1 offset0:8 offset1:9
	v_add_co_u32 v12, vcc_lo, v16, v12
	v_add_co_ci_u32_e32 v13, vcc_lo, v17, v13, vcc_lo
	s_waitcnt lgkmcnt(3)
	v_add_co_u32 v14, vcc_lo, v18, v26
	v_add_co_ci_u32_e32 v15, vcc_lo, v19, v27, vcc_lo
	ds_load_b64 v[16:17], v1 offset:2896
	ds_load_b64 v[18:19], v1 offset:80
	v_add_co_u32 v20, vcc_lo, v20, v28
	v_add_co_ci_u32_e32 v21, vcc_lo, v21, v29, vcc_lo
	s_waitcnt lgkmcnt(4)
	v_add_co_u32 v22, vcc_lo, v22, v30
	v_add_co_ci_u32_e32 v23, vcc_lo, v23, v31, vcc_lo
	v_add_co_u32 v24, vcc_lo, v24, v32
	v_add_co_ci_u32_e32 v25, vcc_lo, v25, v33, vcc_lo
	s_waitcnt lgkmcnt(2)
	v_add_co_u32 v2, vcc_lo, v2, v34
	v_add_co_ci_u32_e32 v3, vcc_lo, v3, v35, vcc_lo
	;; [unrolled: 5-line block ×3, first 2 shown]
	ds_store_2addr_b64 v1, v[6:7], v[8:9] offset1:1
	ds_store_2addr_b64 v1, v[10:11], v[12:13] offset0:2 offset1:3
	ds_store_2addr_b64 v1, v[14:15], v[20:21] offset0:4 offset1:5
	;; [unrolled: 1-line block ×4, first 2 shown]
	ds_store_b64 v1, v[16:17] offset:80
.LBB17_8:
	s_or_b32 exec_lo, exec_lo, s0
	s_delay_alu instid0(SALU_CYCLE_1)
	s_mov_b32 s0, exec_lo
	s_waitcnt lgkmcnt(0)
	s_barrier
	buffer_gl0_inv
	v_cmpx_gt_u32_e32 16, v0
	s_cbranch_execz .LBB17_10
; %bb.9:
	ds_load_2addr_b64 v[2:5], v1 offset0:176 offset1:177
	ds_load_2addr_b64 v[6:9], v1 offset1:1
	ds_load_2addr_b64 v[10:13], v1 offset0:2 offset1:3
	ds_load_2addr_b64 v[14:17], v1 offset0:178 offset1:179
	ds_load_2addr_b64 v[18:21], v1 offset0:180 offset1:181
	ds_load_2addr_b64 v[22:25], v1 offset0:182 offset1:183
	ds_load_2addr_b64 v[26:29], v1 offset0:4 offset1:5
	ds_load_2addr_b64 v[30:33], v1 offset0:6 offset1:7
	ds_load_2addr_b64 v[34:37], v1 offset0:8 offset1:9
	s_waitcnt lgkmcnt(7)
	v_add_co_u32 v38, vcc_lo, v6, v2
	v_add_co_ci_u32_e32 v39, vcc_lo, v7, v3, vcc_lo
	v_add_co_u32 v40, vcc_lo, v8, v4
	v_add_co_ci_u32_e32 v41, vcc_lo, v9, v5, vcc_lo
	ds_load_2addr_b64 v[2:5], v1 offset0:184 offset1:185
	s_waitcnt lgkmcnt(6)
	v_add_co_u32 v10, vcc_lo, v10, v14
	v_add_co_ci_u32_e32 v11, vcc_lo, v11, v15, vcc_lo
	v_add_co_u32 v12, vcc_lo, v12, v16
	ds_load_2addr_b64 v[6:9], v1 offset0:10 offset1:186
	v_add_co_ci_u32_e32 v13, vcc_lo, v13, v17, vcc_lo
	s_waitcnt lgkmcnt(4)
	v_add_co_u32 v14, vcc_lo, v26, v18
	v_add_co_ci_u32_e32 v15, vcc_lo, v27, v19, vcc_lo
	v_add_co_u32 v16, vcc_lo, v28, v20
	v_add_co_ci_u32_e32 v17, vcc_lo, v29, v21, vcc_lo
	s_waitcnt lgkmcnt(3)
	v_add_co_u32 v18, vcc_lo, v30, v22
	v_add_co_ci_u32_e32 v19, vcc_lo, v31, v23, vcc_lo
	v_add_co_u32 v20, vcc_lo, v32, v24
	v_add_co_ci_u32_e32 v21, vcc_lo, v33, v25, vcc_lo
	s_waitcnt lgkmcnt(1)
	v_add_co_u32 v2, vcc_lo, v34, v2
	v_add_co_ci_u32_e32 v3, vcc_lo, v35, v3, vcc_lo
	v_add_co_u32 v4, vcc_lo, v36, v4
	v_add_co_ci_u32_e32 v5, vcc_lo, v37, v5, vcc_lo
	s_waitcnt lgkmcnt(0)
	v_add_co_u32 v6, vcc_lo, v6, v8
	v_add_co_ci_u32_e32 v7, vcc_lo, v7, v9, vcc_lo
	ds_store_2addr_b64 v1, v[38:39], v[40:41] offset1:1
	ds_store_2addr_b64 v1, v[10:11], v[12:13] offset0:2 offset1:3
	ds_store_2addr_b64 v1, v[14:15], v[16:17] offset0:4 offset1:5
	ds_store_2addr_b64 v1, v[18:19], v[20:21] offset0:6 offset1:7
	ds_store_2addr_b64 v1, v[2:3], v[4:5] offset0:8 offset1:9
	ds_store_b64 v1, v[6:7] offset:80
.LBB17_10:
	s_or_b32 exec_lo, exec_lo, s0
	s_delay_alu instid0(SALU_CYCLE_1)
	s_mov_b32 s0, exec_lo
	s_waitcnt lgkmcnt(0)
	s_barrier
	buffer_gl0_inv
	v_cmpx_gt_u32_e32 8, v0
	s_cbranch_execz .LBB17_12
; %bb.11:
	ds_load_2addr_b64 v[2:5], v1 offset0:88 offset1:89
	ds_load_2addr_b64 v[6:9], v1 offset1:1
	ds_load_2addr_b64 v[10:13], v1 offset0:2 offset1:3
	ds_load_2addr_b64 v[14:17], v1 offset0:90 offset1:91
	ds_load_2addr_b64 v[18:21], v1 offset0:92 offset1:93
	ds_load_2addr_b64 v[22:25], v1 offset0:94 offset1:95
	ds_load_2addr_b64 v[26:29], v1 offset0:4 offset1:5
	ds_load_2addr_b64 v[30:33], v1 offset0:6 offset1:7
	ds_load_2addr_b64 v[34:37], v1 offset0:8 offset1:9
	s_waitcnt lgkmcnt(7)
	v_add_co_u32 v38, vcc_lo, v6, v2
	v_add_co_ci_u32_e32 v39, vcc_lo, v7, v3, vcc_lo
	v_add_co_u32 v40, vcc_lo, v8, v4
	v_add_co_ci_u32_e32 v41, vcc_lo, v9, v5, vcc_lo
	ds_load_2addr_b64 v[2:5], v1 offset0:96 offset1:97
	s_waitcnt lgkmcnt(6)
	v_add_co_u32 v10, vcc_lo, v10, v14
	v_add_co_ci_u32_e32 v11, vcc_lo, v11, v15, vcc_lo
	v_add_co_u32 v12, vcc_lo, v12, v16
	ds_load_2addr_b64 v[6:9], v1 offset0:10 offset1:98
	v_add_co_ci_u32_e32 v13, vcc_lo, v13, v17, vcc_lo
	s_waitcnt lgkmcnt(4)
	v_add_co_u32 v14, vcc_lo, v26, v18
	v_add_co_ci_u32_e32 v15, vcc_lo, v27, v19, vcc_lo
	v_add_co_u32 v16, vcc_lo, v28, v20
	v_add_co_ci_u32_e32 v17, vcc_lo, v29, v21, vcc_lo
	s_waitcnt lgkmcnt(3)
	v_add_co_u32 v18, vcc_lo, v30, v22
	v_add_co_ci_u32_e32 v19, vcc_lo, v31, v23, vcc_lo
	v_add_co_u32 v20, vcc_lo, v32, v24
	v_add_co_ci_u32_e32 v21, vcc_lo, v33, v25, vcc_lo
	s_waitcnt lgkmcnt(1)
	v_add_co_u32 v2, vcc_lo, v34, v2
	v_add_co_ci_u32_e32 v3, vcc_lo, v35, v3, vcc_lo
	v_add_co_u32 v4, vcc_lo, v36, v4
	v_add_co_ci_u32_e32 v5, vcc_lo, v37, v5, vcc_lo
	s_waitcnt lgkmcnt(0)
	v_add_co_u32 v6, vcc_lo, v6, v8
	v_add_co_ci_u32_e32 v7, vcc_lo, v7, v9, vcc_lo
	ds_store_2addr_b64 v1, v[38:39], v[40:41] offset1:1
	ds_store_2addr_b64 v1, v[10:11], v[12:13] offset0:2 offset1:3
	ds_store_2addr_b64 v1, v[14:15], v[16:17] offset0:4 offset1:5
	ds_store_2addr_b64 v1, v[18:19], v[20:21] offset0:6 offset1:7
	ds_store_2addr_b64 v1, v[2:3], v[4:5] offset0:8 offset1:9
	ds_store_b64 v1, v[6:7] offset:80
.LBB17_12:
	;; [unrolled: 55-line block ×3, first 2 shown]
	s_or_b32 exec_lo, exec_lo, s0
	s_delay_alu instid0(SALU_CYCLE_1)
	s_mov_b32 s0, exec_lo
	s_waitcnt lgkmcnt(0)
	s_barrier
	buffer_gl0_inv
	v_cmpx_gt_u32_e32 2, v0
	s_cbranch_execz .LBB17_16
; %bb.15:
	v_mul_u32_u24_e32 v1, 11, v0
	s_delay_alu instid0(VALU_DEP_1)
	v_lshlrev_b32_e32 v41, 3, v1
	ds_load_2addr_b64 v[1:4], v41 offset0:22 offset1:23
	ds_load_2addr_b64 v[5:8], v41 offset1:1
	ds_load_2addr_b64 v[9:12], v41 offset0:2 offset1:3
	ds_load_2addr_b64 v[13:16], v41 offset0:24 offset1:25
	;; [unrolled: 1-line block ×8, first 2 shown]
	s_waitcnt lgkmcnt(8)
	v_add_co_u32 v5, vcc_lo, v5, v1
	v_add_co_ci_u32_e32 v6, vcc_lo, v6, v2, vcc_lo
	v_add_co_u32 v7, vcc_lo, v7, v3
	v_add_co_ci_u32_e32 v8, vcc_lo, v8, v4, vcc_lo
	s_waitcnt lgkmcnt(6)
	v_add_co_u32 v9, vcc_lo, v9, v13
	v_add_co_ci_u32_e32 v10, vcc_lo, v10, v14, vcc_lo
	v_add_co_u32 v11, vcc_lo, v11, v15
	ds_load_2addr_b64 v[1:4], v41 offset0:10 offset1:32
	v_add_co_ci_u32_e32 v12, vcc_lo, v12, v16, vcc_lo
	s_waitcnt lgkmcnt(5)
	v_add_co_u32 v13, vcc_lo, v21, v17
	v_add_co_ci_u32_e32 v14, vcc_lo, v22, v18, vcc_lo
	v_add_co_u32 v15, vcc_lo, v23, v19
	v_add_co_ci_u32_e32 v16, vcc_lo, v24, v20, vcc_lo
	s_waitcnt lgkmcnt(3)
	v_add_co_u32 v17, vcc_lo, v25, v29
	v_add_co_ci_u32_e32 v18, vcc_lo, v26, v30, vcc_lo
	v_add_co_u32 v19, vcc_lo, v27, v31
	;; [unrolled: 5-line block ×3, first 2 shown]
	v_add_co_ci_u32_e32 v24, vcc_lo, v40, v36, vcc_lo
	s_waitcnt lgkmcnt(0)
	v_add_co_u32 v1, vcc_lo, v1, v3
	v_add_co_ci_u32_e32 v2, vcc_lo, v2, v4, vcc_lo
	ds_store_2addr_b64 v41, v[5:6], v[7:8] offset1:1
	ds_store_2addr_b64 v41, v[9:10], v[11:12] offset0:2 offset1:3
	ds_store_2addr_b64 v41, v[13:14], v[15:16] offset0:4 offset1:5
	;; [unrolled: 1-line block ×4, first 2 shown]
	ds_store_b64 v41, v[1:2] offset:80
.LBB17_16:
	s_or_b32 exec_lo, exec_lo, s0
	s_delay_alu instid0(SALU_CYCLE_1)
	s_mov_b32 s0, exec_lo
	s_waitcnt lgkmcnt(0)
	s_barrier
	buffer_gl0_inv
	v_cmpx_eq_u32_e32 0, v0
	s_cbranch_execz .LBB17_18
; %bb.17:
	v_mov_b32_e32 v41, 0
	ds_load_b128 v[1:4], v41 offset:80
	ds_load_b128 v[5:8], v41
	ds_load_b128 v[9:12], v41 offset:96
	ds_load_b128 v[13:16], v41 offset:16
	;; [unrolled: 1-line block ×8, first 2 shown]
	s_waitcnt lgkmcnt(8)
	v_add_co_u32 v3, vcc_lo, v5, v3
	v_add_co_ci_u32_e32 v4, vcc_lo, v6, v4, vcc_lo
	s_waitcnt lgkmcnt(7)
	v_add_co_u32 v5, vcc_lo, v7, v9
	v_add_co_ci_u32_e32 v6, vcc_lo, v8, v10, vcc_lo
	;; [unrolled: 3-line block ×3, first 2 shown]
	ds_load_b128 v[11:14], v41 offset:160
	s_waitcnt lgkmcnt(6)
	v_add_co_u32 v9, vcc_lo, v15, v17
	v_add_co_ci_u32_e32 v10, vcc_lo, v16, v18, vcc_lo
	s_waitcnt lgkmcnt(5)
	v_add_co_u32 v15, vcc_lo, v21, v19
	v_add_co_ci_u32_e32 v16, vcc_lo, v22, v20, vcc_lo
	s_waitcnt lgkmcnt(3)
	v_add_co_u32 v17, vcc_lo, v23, v29
	v_add_co_ci_u32_e32 v18, vcc_lo, v24, v30, vcc_lo
	v_add_co_u32 v19, vcc_lo, v25, v31
	v_add_co_ci_u32_e32 v20, vcc_lo, v26, v32, vcc_lo
	s_waitcnt lgkmcnt(2)
	v_add_co_u32 v21, vcc_lo, v27, v33
	v_add_co_ci_u32_e32 v22, vcc_lo, v28, v34, vcc_lo
	s_waitcnt lgkmcnt(1)
	;; [unrolled: 3-line block ×3, first 2 shown]
	v_add_co_u32 v25, vcc_lo, v39, v11
	v_add_co_ci_u32_e32 v26, vcc_lo, v40, v12, vcc_lo
	v_add_co_u32 v1, vcc_lo, v1, v13
	v_add_co_ci_u32_e32 v2, vcc_lo, v2, v14, vcc_lo
	ds_store_b128 v41, v[3:6]
	ds_store_b128 v41, v[7:10] offset:16
	ds_store_b128 v41, v[15:18] offset:32
	;; [unrolled: 1-line block ×4, first 2 shown]
	ds_store_b64 v41, v[1:2] offset:80
.LBB17_18:
	s_or_b32 exec_lo, exec_lo, s0
	s_waitcnt lgkmcnt(0)
	s_barrier
	buffer_gl0_inv
	s_mov_b32 s0, exec_lo
	v_cmpx_gt_u32_e32 11, v0
	s_cbranch_execz .LBB17_20
; %bb.19:
	v_lshlrev_b32_e32 v2, 3, v0
	ds_load_b64 v[0:1], v2
	s_waitcnt lgkmcnt(0)
	global_store_b64 v2, v[0:1], s[2:3]
.LBB17_20:
	s_nop 0
	s_sendmsg sendmsg(MSG_DEALLOC_VGPRS)
	s_endpgm
	.section	.rodata,"a",@progbits
	.p2align	6, 0x0
	.amdhsa_kernel _ZN9rocsparseL26csrgemm_group_reduce_part3ILj256ELj11ElEEvPT1_
		.amdhsa_group_segment_fixed_size 22528
		.amdhsa_private_segment_fixed_size 0
		.amdhsa_kernarg_size 8
		.amdhsa_user_sgpr_count 15
		.amdhsa_user_sgpr_dispatch_ptr 0
		.amdhsa_user_sgpr_queue_ptr 0
		.amdhsa_user_sgpr_kernarg_segment_ptr 1
		.amdhsa_user_sgpr_dispatch_id 0
		.amdhsa_user_sgpr_private_segment_size 0
		.amdhsa_wavefront_size32 1
		.amdhsa_uses_dynamic_stack 0
		.amdhsa_enable_private_segment 0
		.amdhsa_system_sgpr_workgroup_id_x 1
		.amdhsa_system_sgpr_workgroup_id_y 0
		.amdhsa_system_sgpr_workgroup_id_z 0
		.amdhsa_system_sgpr_workgroup_info 0
		.amdhsa_system_vgpr_workitem_id 0
		.amdhsa_next_free_vgpr 42
		.amdhsa_next_free_sgpr 6
		.amdhsa_reserve_vcc 1
		.amdhsa_float_round_mode_32 0
		.amdhsa_float_round_mode_16_64 0
		.amdhsa_float_denorm_mode_32 3
		.amdhsa_float_denorm_mode_16_64 3
		.amdhsa_dx10_clamp 1
		.amdhsa_ieee_mode 1
		.amdhsa_fp16_overflow 0
		.amdhsa_workgroup_processor_mode 1
		.amdhsa_memory_ordered 1
		.amdhsa_forward_progress 0
		.amdhsa_shared_vgpr_count 0
		.amdhsa_exception_fp_ieee_invalid_op 0
		.amdhsa_exception_fp_denorm_src 0
		.amdhsa_exception_fp_ieee_div_zero 0
		.amdhsa_exception_fp_ieee_overflow 0
		.amdhsa_exception_fp_ieee_underflow 0
		.amdhsa_exception_fp_ieee_inexact 0
		.amdhsa_exception_int_div_zero 0
	.end_amdhsa_kernel
	.section	.text._ZN9rocsparseL26csrgemm_group_reduce_part3ILj256ELj11ElEEvPT1_,"axG",@progbits,_ZN9rocsparseL26csrgemm_group_reduce_part3ILj256ELj11ElEEvPT1_,comdat
.Lfunc_end17:
	.size	_ZN9rocsparseL26csrgemm_group_reduce_part3ILj256ELj11ElEEvPT1_, .Lfunc_end17-_ZN9rocsparseL26csrgemm_group_reduce_part3ILj256ELj11ElEEvPT1_
                                        ; -- End function
	.section	.AMDGPU.csdata,"",@progbits
; Kernel info:
; codeLenInByte = 3144
; NumSgprs: 8
; NumVgprs: 42
; ScratchSize: 0
; MemoryBound: 1
; FloatMode: 240
; IeeeMode: 1
; LDSByteSize: 22528 bytes/workgroup (compile time only)
; SGPRBlocks: 0
; VGPRBlocks: 5
; NumSGPRsForWavesPerEU: 8
; NumVGPRsForWavesPerEU: 42
; Occupancy: 10
; WaveLimiterHint : 1
; COMPUTE_PGM_RSRC2:SCRATCH_EN: 0
; COMPUTE_PGM_RSRC2:USER_SGPR: 15
; COMPUTE_PGM_RSRC2:TRAP_HANDLER: 0
; COMPUTE_PGM_RSRC2:TGID_X_EN: 1
; COMPUTE_PGM_RSRC2:TGID_Y_EN: 0
; COMPUTE_PGM_RSRC2:TGID_Z_EN: 0
; COMPUTE_PGM_RSRC2:TIDIG_COMP_CNT: 0
	.section	.text._ZN9rocsparseL22csrgemm_nnz_wf_per_rowILj128ELj4ELj32ELj79EilEEvT4_PKS1_S3_PKT3_S3_S6_S3_S6_S3_PS4_21rocsparse_index_base_S8_S8_bb,"axG",@progbits,_ZN9rocsparseL22csrgemm_nnz_wf_per_rowILj128ELj4ELj32ELj79EilEEvT4_PKS1_S3_PKT3_S3_S6_S3_S6_S3_PS4_21rocsparse_index_base_S8_S8_bb,comdat
	.globl	_ZN9rocsparseL22csrgemm_nnz_wf_per_rowILj128ELj4ELj32ELj79EilEEvT4_PKS1_S3_PKT3_S3_S6_S3_S6_S3_PS4_21rocsparse_index_base_S8_S8_bb ; -- Begin function _ZN9rocsparseL22csrgemm_nnz_wf_per_rowILj128ELj4ELj32ELj79EilEEvT4_PKS1_S3_PKT3_S3_S6_S3_S6_S3_PS4_21rocsparse_index_base_S8_S8_bb
	.p2align	8
	.type	_ZN9rocsparseL22csrgemm_nnz_wf_per_rowILj128ELj4ELj32ELj79EilEEvT4_PKS1_S3_PKT3_S3_S6_S3_S6_S3_PS4_21rocsparse_index_base_S8_S8_bb,@function
_ZN9rocsparseL22csrgemm_nnz_wf_per_rowILj128ELj4ELj32ELj79EilEEvT4_PKS1_S3_PKT3_S3_S6_S3_S6_S3_PS4_21rocsparse_index_base_S8_S8_bb: ; @_ZN9rocsparseL22csrgemm_nnz_wf_per_rowILj128ELj4ELj32ELj79EilEEvT4_PKS1_S3_PKT3_S3_S6_S3_S6_S3_PS4_21rocsparse_index_base_S8_S8_bb
; %bb.0:
	s_clause 0x2
	s_load_b64 s[24:25], s[0:1], 0x48
	s_load_b256 s[16:23], s[0:1], 0x8
	s_load_b256 s[4:11], s[0:1], 0x28
	v_and_b32_e32 v10, 3, v0
	v_lshrrev_b32_e32 v4, 2, v0
	s_mov_b32 s2, 0
	s_delay_alu instid0(VALU_DEP_2) | instskip(NEXT) | instid1(VALU_DEP_1)
	v_dual_mov_b32 v0, -1 :: v_dual_lshlrev_b32 v1, 3, v10
	v_lshl_or_b32 v3, v4, 8, v1
	s_delay_alu instid0(VALU_DEP_2)
	v_mov_b32_e32 v1, v0
	v_or_b32_e32 v2, -4, v10
.LBB18_1:                               ; =>This Inner Loop Header: Depth=1
	s_delay_alu instid0(VALU_DEP_1) | instskip(SKIP_4) | instid1(SALU_CYCLE_1)
	v_add_nc_u32_e32 v2, 4, v2
	ds_store_b64 v3, v[0:1]
	v_add_nc_u32_e32 v3, 32, v3
	v_cmp_lt_u32_e32 vcc_lo, 27, v2
	s_or_b32 s2, vcc_lo, s2
	s_and_not1_b32 exec_lo, exec_lo, s2
	s_cbranch_execnz .LBB18_1
; %bb.2:
	s_or_b32 exec_lo, exec_lo, s2
	s_load_b64 s[2:3], s[0:1], 0x0
	s_lshl_b32 s12, s15, 5
	v_mov_b32_e32 v1, 0
	v_and_or_b32 v0, 0x3fffffe0, s12, v4
	s_waitcnt lgkmcnt(0)
	buffer_gl0_inv
	v_cmp_gt_i64_e32 vcc_lo, s[2:3], v[0:1]
	s_and_saveexec_b32 s2, vcc_lo
	s_cbranch_execz .LBB18_39
; %bb.3:
	s_cmp_eq_u64 s[18:19], 0
	s_cbranch_scc1 .LBB18_5
; %bb.4:
	s_load_b64 s[2:3], s[16:17], 0x0
	v_lshlrev_b64 v[0:1], 3, v[0:1]
	s_waitcnt lgkmcnt(0)
	s_lshl_b64 s[2:3], s[2:3], 3
	s_delay_alu instid0(SALU_CYCLE_1) | instskip(SKIP_1) | instid1(VALU_DEP_1)
	s_add_u32 s2, s18, s2
	s_addc_u32 s3, s19, s3
	v_add_co_u32 v0, vcc_lo, s2, v0
	v_add_co_ci_u32_e32 v1, vcc_lo, s3, v1, vcc_lo
	global_load_b64 v[0:1], v[0:1], off
.LBB18_5:
	s_load_b128 s[12:15], s[0:1], 0x50
	v_dual_mov_b32 v2, 0 :: v_dual_lshlrev_b32 v11, 8, v4
	s_waitcnt vmcnt(0)
	v_lshlrev_b64 v[0:1], 2, v[0:1]
	v_mov_b32_e32 v3, 0
	s_waitcnt lgkmcnt(0)
	s_bitcmp0_b32 s15, 0
	s_cbranch_scc1 .LBB18_23
; %bb.6:
	s_delay_alu instid0(VALU_DEP_2)
	v_add_co_u32 v2, vcc_lo, s20, v0
	v_add_co_ci_u32_e32 v3, vcc_lo, s21, v1, vcc_lo
	v_subrev_nc_u32_e32 v4, s12, v10
	s_mov_b32 s3, exec_lo
	global_load_b64 v[2:3], v[2:3], off
	s_waitcnt vmcnt(0)
	v_subrev_nc_u32_e32 v12, s12, v3
	v_add_nc_u32_e32 v4, v4, v2
	v_mov_b32_e32 v2, 0
	v_mov_b32_e32 v3, 0
	s_delay_alu instid0(VALU_DEP_3)
	v_cmpx_lt_i32_e64 v4, v12
	s_cbranch_execz .LBB18_22
; %bb.7:
	v_mov_b32_e32 v2, 0
	v_mov_b32_e32 v3, 0
	s_mov_b32 s15, 0
	s_mov_b32 s16, s13
	s_branch .LBB18_10
.LBB18_8:                               ;   in Loop: Header=BB18_10 Depth=1
	s_or_b32 exec_lo, exec_lo, s18
.LBB18_9:                               ;   in Loop: Header=BB18_10 Depth=1
	s_delay_alu instid0(SALU_CYCLE_1) | instskip(SKIP_1) | instid1(VALU_DEP_1)
	s_or_b32 exec_lo, exec_lo, s17
	v_add_nc_u32_e32 v4, 4, v4
	v_cmp_ge_i32_e32 vcc_lo, v4, v12
	s_or_b32 s15, vcc_lo, s15
	s_delay_alu instid0(SALU_CYCLE_1)
	s_and_not1_b32 exec_lo, exec_lo, s15
	s_cbranch_execz .LBB18_21
.LBB18_10:                              ; =>This Loop Header: Depth=1
                                        ;     Child Loop BB18_13 Depth 2
                                        ;       Child Loop BB18_16 Depth 3
	v_ashrrev_i32_e32 v5, 31, v4
	s_mov_b32 s17, exec_lo
	s_delay_alu instid0(VALU_DEP_1) | instskip(NEXT) | instid1(VALU_DEP_1)
	v_lshlrev_b64 v[5:6], 3, v[4:5]
	v_add_co_u32 v5, vcc_lo, s22, v5
	s_delay_alu instid0(VALU_DEP_2) | instskip(SKIP_4) | instid1(VALU_DEP_1)
	v_add_co_ci_u32_e32 v6, vcc_lo, s23, v6, vcc_lo
	global_load_b64 v[5:6], v[5:6], off
	s_waitcnt vmcnt(0)
	v_sub_co_u32 v5, vcc_lo, v5, s12
	v_subrev_co_ci_u32_e32 v6, vcc_lo, 0, v6, vcc_lo
	v_lshlrev_b64 v[5:6], 2, v[5:6]
	s_delay_alu instid0(VALU_DEP_1) | instskip(NEXT) | instid1(VALU_DEP_2)
	v_add_co_u32 v5, vcc_lo, s4, v5
	v_add_co_ci_u32_e32 v6, vcc_lo, s5, v6, vcc_lo
	global_load_b64 v[5:6], v[5:6], off
	s_waitcnt vmcnt(0)
	v_cmpx_lt_i32_e64 v5, v6
	s_cbranch_execz .LBB18_9
; %bb.11:                               ;   in Loop: Header=BB18_10 Depth=1
	v_subrev_nc_u32_e32 v13, s13, v6
	v_subrev_nc_u32_e32 v5, s13, v5
	s_mov_b32 s18, 0
	s_branch .LBB18_13
.LBB18_12:                              ;   in Loop: Header=BB18_13 Depth=2
	s_or_b32 exec_lo, exec_lo, s20
	v_add_nc_u32_e32 v5, 1, v5
	v_cndmask_b32_e64 v6, 0, 1, s19
	s_delay_alu instid0(VALU_DEP_2) | instskip(NEXT) | instid1(VALU_DEP_2)
	v_cmp_ge_i32_e32 vcc_lo, v5, v13
	v_add_co_u32 v2, s2, v2, v6
	s_delay_alu instid0(VALU_DEP_1) | instskip(SKIP_1) | instid1(SALU_CYCLE_1)
	v_add_co_ci_u32_e64 v3, s2, 0, v3, s2
	s_or_b32 s18, vcc_lo, s18
	s_and_not1_b32 exec_lo, exec_lo, s18
	s_cbranch_execz .LBB18_8
.LBB18_13:                              ;   Parent Loop BB18_10 Depth=1
                                        ; =>  This Loop Header: Depth=2
                                        ;       Child Loop BB18_16 Depth 3
	s_delay_alu instid0(VALU_DEP_1) | instskip(SKIP_1) | instid1(VALU_DEP_1)
	v_ashrrev_i32_e32 v6, 31, v5
	s_mov_b32 s20, 0
                                        ; implicit-def: $sgpr19
                                        ; implicit-def: $sgpr21
                                        ; implicit-def: $sgpr26
                                        ; implicit-def: $sgpr27
	v_lshlrev_b64 v[6:7], 3, v[5:6]
	s_delay_alu instid0(VALU_DEP_1) | instskip(NEXT) | instid1(VALU_DEP_2)
	v_add_co_u32 v6, vcc_lo, s6, v6
	v_add_co_ci_u32_e32 v7, vcc_lo, s7, v7, vcc_lo
	global_load_b64 v[6:7], v[6:7], off
	s_waitcnt vmcnt(0)
	v_sub_co_u32 v6, vcc_lo, v6, s16
	v_subrev_co_ci_u32_e32 v7, vcc_lo, 0, v7, vcc_lo
	s_delay_alu instid0(VALU_DEP_2) | instskip(NEXT) | instid1(VALU_DEP_1)
	v_mul_lo_u32 v8, v6, 15
	v_and_b32_e32 v14, 31, v8
	s_branch .LBB18_16
.LBB18_14:                              ;   in Loop: Header=BB18_16 Depth=3
	s_or_b32 exec_lo, exec_lo, s31
	s_delay_alu instid0(SALU_CYCLE_1)
	s_and_not1_b32 s2, s26, exec_lo
	s_and_b32 s26, s30, exec_lo
	s_and_not1_b32 s21, s21, exec_lo
	s_and_b32 s27, s29, exec_lo
	s_or_b32 s26, s2, s26
	s_or_b32 s21, s21, s27
                                        ; implicit-def: $sgpr27
.LBB18_15:                              ;   in Loop: Header=BB18_16 Depth=3
	s_or_b32 exec_lo, exec_lo, s28
	s_xor_b32 s2, s21, -1
	s_delay_alu instid0(SALU_CYCLE_1) | instskip(NEXT) | instid1(SALU_CYCLE_1)
	s_and_b32 s2, exec_lo, s2
	s_or_b32 s20, s2, s20
	s_and_not1_b32 s2, s27, exec_lo
	s_and_b32 s28, s26, exec_lo
	s_and_not1_b32 s19, s19, exec_lo
	s_or_b32 s27, s2, s28
	s_or_b32 s19, s19, s28
	s_and_not1_b32 exec_lo, exec_lo, s20
	s_cbranch_execz .LBB18_12
.LBB18_16:                              ;   Parent Loop BB18_10 Depth=1
                                        ;     Parent Loop BB18_13 Depth=2
                                        ; =>    This Inner Loop Header: Depth=3
	s_delay_alu instid0(VALU_DEP_1)
	v_lshl_add_u32 v15, v14, 3, v11
	s_and_not1_b32 s26, s26, exec_lo
	s_and_not1_b32 s21, s21, exec_lo
	s_mov_b32 s28, exec_lo
	ds_load_b64 v[8:9], v15
	s_waitcnt lgkmcnt(0)
	v_cmpx_ne_u64_e64 v[8:9], v[6:7]
	s_cbranch_execz .LBB18_15
; %bb.17:                               ;   in Loop: Header=BB18_16 Depth=3
	s_mov_b32 s2, exec_lo
                                        ; implicit-def: $sgpr30
                                        ; implicit-def: $sgpr29
	v_cmpx_ne_u64_e32 -1, v[8:9]
	s_xor_b32 s2, exec_lo, s2
; %bb.18:                               ;   in Loop: Header=BB18_16 Depth=3
	v_add_nc_u32_e32 v8, 1, v14
	s_mov_b32 s29, -1
	s_and_b32 s30, s27, exec_lo
                                        ; implicit-def: $vgpr15
	s_delay_alu instid0(VALU_DEP_1)
	v_and_b32_e32 v14, 31, v8
; %bb.19:                               ;   in Loop: Header=BB18_16 Depth=3
	s_and_not1_saveexec_b32 s31, s2
	s_cbranch_execz .LBB18_14
; %bb.20:                               ;   in Loop: Header=BB18_16 Depth=3
	v_mov_b32_e32 v8, -1
	v_mov_b32_e32 v9, -1
	s_and_not1_b32 s29, s29, exec_lo
	s_and_not1_b32 s30, s30, exec_lo
	ds_cmpstore_rtn_b64 v[8:9], v15, v[6:7], v[8:9]
	s_waitcnt lgkmcnt(0)
	v_cmp_eq_u64_e32 vcc_lo, -1, v[8:9]
	v_cmp_ne_u64_e64 s2, -1, v[8:9]
	s_or_b32 s27, vcc_lo, s27
	s_delay_alu instid0(VALU_DEP_1)
	s_and_b32 s2, s2, exec_lo
	s_and_b32 s27, s27, exec_lo
	s_or_b32 s29, s29, s2
	s_or_b32 s30, s30, s27
	s_branch .LBB18_14
.LBB18_21:
	s_or_b32 exec_lo, exec_lo, s15
.LBB18_22:
	s_delay_alu instid0(SALU_CYCLE_1)
	s_or_b32 exec_lo, exec_lo, s3
.LBB18_23:
	s_load_b32 s0, s[0:1], 0x5c
	s_waitcnt lgkmcnt(0)
	s_bfe_u32 s0, s0, 0x10008
	s_delay_alu instid0(SALU_CYCLE_1)
	s_cmp_eq_u32 s0, 0
	s_cbranch_scc1 .LBB18_37
; %bb.24:
	v_add_co_u32 v4, vcc_lo, s8, v0
	v_add_co_ci_u32_e32 v5, vcc_lo, s9, v1, vcc_lo
	v_subrev_nc_u32_e32 v6, s14, v10
	s_mov_b32 s1, exec_lo
	global_load_b64 v[4:5], v[4:5], off
	s_waitcnt vmcnt(0)
	v_subrev_nc_u32_e32 v9, s14, v5
	v_add_nc_u32_e32 v4, v6, v4
	s_delay_alu instid0(VALU_DEP_1)
	v_cmpx_lt_i32_e64 v4, v9
	s_cbranch_execz .LBB18_36
; %bb.25:
	s_mov_b32 s2, 0
	s_branch .LBB18_27
.LBB18_26:                              ;   in Loop: Header=BB18_27 Depth=1
	s_or_b32 exec_lo, exec_lo, s4
	v_add_nc_u32_e32 v4, 4, v4
	v_cndmask_b32_e64 v5, 0, 1, s3
	s_delay_alu instid0(VALU_DEP_2) | instskip(NEXT) | instid1(VALU_DEP_2)
	v_cmp_ge_i32_e32 vcc_lo, v4, v9
	v_add_co_u32 v2, s0, v2, v5
	s_delay_alu instid0(VALU_DEP_1) | instskip(SKIP_1) | instid1(SALU_CYCLE_1)
	v_add_co_ci_u32_e64 v3, s0, 0, v3, s0
	s_or_b32 s2, vcc_lo, s2
	s_and_not1_b32 exec_lo, exec_lo, s2
	s_cbranch_execz .LBB18_35
.LBB18_27:                              ; =>This Loop Header: Depth=1
                                        ;     Child Loop BB18_30 Depth 2
	v_ashrrev_i32_e32 v5, 31, v4
	s_mov_b32 s4, 0
                                        ; implicit-def: $sgpr3
                                        ; implicit-def: $sgpr5
                                        ; implicit-def: $sgpr6
                                        ; implicit-def: $sgpr7
	s_delay_alu instid0(VALU_DEP_1) | instskip(NEXT) | instid1(VALU_DEP_1)
	v_lshlrev_b64 v[5:6], 3, v[4:5]
	v_add_co_u32 v5, vcc_lo, s10, v5
	s_delay_alu instid0(VALU_DEP_2) | instskip(SKIP_4) | instid1(VALU_DEP_2)
	v_add_co_ci_u32_e32 v6, vcc_lo, s11, v6, vcc_lo
	global_load_b64 v[5:6], v[5:6], off
	s_waitcnt vmcnt(0)
	v_sub_co_u32 v5, vcc_lo, v5, s14
	v_subrev_co_ci_u32_e32 v6, vcc_lo, 0, v6, vcc_lo
	v_mul_lo_u32 v7, v5, 15
	s_delay_alu instid0(VALU_DEP_1)
	v_and_b32_e32 v12, 31, v7
	s_branch .LBB18_30
.LBB18_28:                              ;   in Loop: Header=BB18_30 Depth=2
	s_or_b32 exec_lo, exec_lo, s13
	s_delay_alu instid0(SALU_CYCLE_1)
	s_and_not1_b32 s0, s6, exec_lo
	s_and_b32 s6, s12, exec_lo
	s_and_not1_b32 s5, s5, exec_lo
	s_and_b32 s7, s9, exec_lo
	s_or_b32 s6, s0, s6
	s_or_b32 s5, s5, s7
                                        ; implicit-def: $sgpr7
.LBB18_29:                              ;   in Loop: Header=BB18_30 Depth=2
	s_or_b32 exec_lo, exec_lo, s8
	s_xor_b32 s0, s5, -1
	s_delay_alu instid0(SALU_CYCLE_1) | instskip(NEXT) | instid1(SALU_CYCLE_1)
	s_and_b32 s0, exec_lo, s0
	s_or_b32 s4, s0, s4
	s_and_not1_b32 s0, s7, exec_lo
	s_and_b32 s8, s6, exec_lo
	s_and_not1_b32 s3, s3, exec_lo
	s_or_b32 s7, s0, s8
	s_or_b32 s3, s3, s8
	s_and_not1_b32 exec_lo, exec_lo, s4
	s_cbranch_execz .LBB18_26
.LBB18_30:                              ;   Parent Loop BB18_27 Depth=1
                                        ; =>  This Inner Loop Header: Depth=2
	s_delay_alu instid0(VALU_DEP_1)
	v_lshl_add_u32 v13, v12, 3, v11
	s_and_not1_b32 s6, s6, exec_lo
	s_and_not1_b32 s5, s5, exec_lo
	s_mov_b32 s8, exec_lo
	ds_load_b64 v[7:8], v13
	s_waitcnt lgkmcnt(0)
	v_cmpx_ne_u64_e64 v[7:8], v[5:6]
	s_cbranch_execz .LBB18_29
; %bb.31:                               ;   in Loop: Header=BB18_30 Depth=2
	s_mov_b32 s0, exec_lo
                                        ; implicit-def: $sgpr12
                                        ; implicit-def: $sgpr9
	v_cmpx_ne_u64_e32 -1, v[7:8]
	s_xor_b32 s0, exec_lo, s0
; %bb.32:                               ;   in Loop: Header=BB18_30 Depth=2
	v_add_nc_u32_e32 v7, 1, v12
	s_mov_b32 s9, -1
	s_and_b32 s12, s7, exec_lo
                                        ; implicit-def: $vgpr13
	s_delay_alu instid0(VALU_DEP_1)
	v_and_b32_e32 v12, 31, v7
; %bb.33:                               ;   in Loop: Header=BB18_30 Depth=2
	s_and_not1_saveexec_b32 s13, s0
	s_cbranch_execz .LBB18_28
; %bb.34:                               ;   in Loop: Header=BB18_30 Depth=2
	v_mov_b32_e32 v7, -1
	v_mov_b32_e32 v8, -1
	s_and_not1_b32 s9, s9, exec_lo
	s_and_not1_b32 s12, s12, exec_lo
	ds_cmpstore_rtn_b64 v[7:8], v13, v[5:6], v[7:8]
	s_waitcnt lgkmcnt(0)
	v_cmp_eq_u64_e32 vcc_lo, -1, v[7:8]
	v_cmp_ne_u64_e64 s0, -1, v[7:8]
	s_or_b32 s7, vcc_lo, s7
	s_delay_alu instid0(VALU_DEP_1)
	s_and_b32 s0, s0, exec_lo
	s_and_b32 s7, s7, exec_lo
	s_or_b32 s9, s9, s0
	s_or_b32 s12, s12, s7
	s_branch .LBB18_28
.LBB18_35:
	s_or_b32 exec_lo, exec_lo, s2
.LBB18_36:
	s_delay_alu instid0(SALU_CYCLE_1)
	s_or_b32 exec_lo, exec_lo, s1
.LBB18_37:
	v_mbcnt_lo_u32_b32 v3, -1, 0
	s_delay_alu instid0(VALU_DEP_1) | instskip(SKIP_1) | instid1(VALU_DEP_2)
	v_xor_b32_e32 v4, 2, v3
	v_xor_b32_e32 v5, 1, v3
	v_cmp_gt_i32_e32 vcc_lo, 32, v4
	v_cndmask_b32_e32 v4, v3, v4, vcc_lo
	s_delay_alu instid0(VALU_DEP_3) | instskip(SKIP_2) | instid1(VALU_DEP_2)
	v_cmp_gt_i32_e32 vcc_lo, 32, v5
	v_cndmask_b32_e32 v3, v3, v5, vcc_lo
	v_cmp_eq_u32_e32 vcc_lo, 3, v10
	v_lshlrev_b32_e32 v3, 2, v3
	v_lshlrev_b32_e32 v4, 2, v4
	ds_bpermute_b32 v4, v4, v2
	s_waitcnt lgkmcnt(0)
	v_add_nc_u32_e32 v2, v4, v2
	ds_bpermute_b32 v3, v3, v2
	s_and_b32 exec_lo, exec_lo, vcc_lo
	s_cbranch_execz .LBB18_39
; %bb.38:
	v_add_co_u32 v0, vcc_lo, s24, v0
	v_add_co_ci_u32_e32 v1, vcc_lo, s25, v1, vcc_lo
	s_waitcnt lgkmcnt(0)
	v_add_nc_u32_e32 v2, v3, v2
	global_store_b32 v[0:1], v2, off
.LBB18_39:
	s_nop 0
	s_sendmsg sendmsg(MSG_DEALLOC_VGPRS)
	s_endpgm
	.section	.rodata,"a",@progbits
	.p2align	6, 0x0
	.amdhsa_kernel _ZN9rocsparseL22csrgemm_nnz_wf_per_rowILj128ELj4ELj32ELj79EilEEvT4_PKS1_S3_PKT3_S3_S6_S3_S6_S3_PS4_21rocsparse_index_base_S8_S8_bb
		.amdhsa_group_segment_fixed_size 8192
		.amdhsa_private_segment_fixed_size 0
		.amdhsa_kernarg_size 96
		.amdhsa_user_sgpr_count 15
		.amdhsa_user_sgpr_dispatch_ptr 0
		.amdhsa_user_sgpr_queue_ptr 0
		.amdhsa_user_sgpr_kernarg_segment_ptr 1
		.amdhsa_user_sgpr_dispatch_id 0
		.amdhsa_user_sgpr_private_segment_size 0
		.amdhsa_wavefront_size32 1
		.amdhsa_uses_dynamic_stack 0
		.amdhsa_enable_private_segment 0
		.amdhsa_system_sgpr_workgroup_id_x 1
		.amdhsa_system_sgpr_workgroup_id_y 0
		.amdhsa_system_sgpr_workgroup_id_z 0
		.amdhsa_system_sgpr_workgroup_info 0
		.amdhsa_system_vgpr_workitem_id 0
		.amdhsa_next_free_vgpr 16
		.amdhsa_next_free_sgpr 32
		.amdhsa_reserve_vcc 1
		.amdhsa_float_round_mode_32 0
		.amdhsa_float_round_mode_16_64 0
		.amdhsa_float_denorm_mode_32 3
		.amdhsa_float_denorm_mode_16_64 3
		.amdhsa_dx10_clamp 1
		.amdhsa_ieee_mode 1
		.amdhsa_fp16_overflow 0
		.amdhsa_workgroup_processor_mode 1
		.amdhsa_memory_ordered 1
		.amdhsa_forward_progress 0
		.amdhsa_shared_vgpr_count 0
		.amdhsa_exception_fp_ieee_invalid_op 0
		.amdhsa_exception_fp_denorm_src 0
		.amdhsa_exception_fp_ieee_div_zero 0
		.amdhsa_exception_fp_ieee_overflow 0
		.amdhsa_exception_fp_ieee_underflow 0
		.amdhsa_exception_fp_ieee_inexact 0
		.amdhsa_exception_int_div_zero 0
	.end_amdhsa_kernel
	.section	.text._ZN9rocsparseL22csrgemm_nnz_wf_per_rowILj128ELj4ELj32ELj79EilEEvT4_PKS1_S3_PKT3_S3_S6_S3_S6_S3_PS4_21rocsparse_index_base_S8_S8_bb,"axG",@progbits,_ZN9rocsparseL22csrgemm_nnz_wf_per_rowILj128ELj4ELj32ELj79EilEEvT4_PKS1_S3_PKT3_S3_S6_S3_S6_S3_PS4_21rocsparse_index_base_S8_S8_bb,comdat
.Lfunc_end18:
	.size	_ZN9rocsparseL22csrgemm_nnz_wf_per_rowILj128ELj4ELj32ELj79EilEEvT4_PKS1_S3_PKT3_S3_S6_S3_S6_S3_PS4_21rocsparse_index_base_S8_S8_bb, .Lfunc_end18-_ZN9rocsparseL22csrgemm_nnz_wf_per_rowILj128ELj4ELj32ELj79EilEEvT4_PKS1_S3_PKT3_S3_S6_S3_S6_S3_PS4_21rocsparse_index_base_S8_S8_bb
                                        ; -- End function
	.section	.AMDGPU.csdata,"",@progbits
; Kernel info:
; codeLenInByte = 1508
; NumSgprs: 34
; NumVgprs: 16
; ScratchSize: 0
; MemoryBound: 0
; FloatMode: 240
; IeeeMode: 1
; LDSByteSize: 8192 bytes/workgroup (compile time only)
; SGPRBlocks: 4
; VGPRBlocks: 1
; NumSGPRsForWavesPerEU: 34
; NumVGPRsForWavesPerEU: 16
; Occupancy: 16
; WaveLimiterHint : 1
; COMPUTE_PGM_RSRC2:SCRATCH_EN: 0
; COMPUTE_PGM_RSRC2:USER_SGPR: 15
; COMPUTE_PGM_RSRC2:TRAP_HANDLER: 0
; COMPUTE_PGM_RSRC2:TGID_X_EN: 1
; COMPUTE_PGM_RSRC2:TGID_Y_EN: 0
; COMPUTE_PGM_RSRC2:TGID_Z_EN: 0
; COMPUTE_PGM_RSRC2:TIDIG_COMP_CNT: 0
	.section	.text._ZN9rocsparseL22csrgemm_nnz_wf_per_rowILj256ELj8ELj64ELj79EilEEvT4_PKS1_S3_PKT3_S3_S6_S3_S6_S3_PS4_21rocsparse_index_base_S8_S8_bb,"axG",@progbits,_ZN9rocsparseL22csrgemm_nnz_wf_per_rowILj256ELj8ELj64ELj79EilEEvT4_PKS1_S3_PKT3_S3_S6_S3_S6_S3_PS4_21rocsparse_index_base_S8_S8_bb,comdat
	.globl	_ZN9rocsparseL22csrgemm_nnz_wf_per_rowILj256ELj8ELj64ELj79EilEEvT4_PKS1_S3_PKT3_S3_S6_S3_S6_S3_PS4_21rocsparse_index_base_S8_S8_bb ; -- Begin function _ZN9rocsparseL22csrgemm_nnz_wf_per_rowILj256ELj8ELj64ELj79EilEEvT4_PKS1_S3_PKT3_S3_S6_S3_S6_S3_PS4_21rocsparse_index_base_S8_S8_bb
	.p2align	8
	.type	_ZN9rocsparseL22csrgemm_nnz_wf_per_rowILj256ELj8ELj64ELj79EilEEvT4_PKS1_S3_PKT3_S3_S6_S3_S6_S3_PS4_21rocsparse_index_base_S8_S8_bb,@function
_ZN9rocsparseL22csrgemm_nnz_wf_per_rowILj256ELj8ELj64ELj79EilEEvT4_PKS1_S3_PKT3_S3_S6_S3_S6_S3_PS4_21rocsparse_index_base_S8_S8_bb: ; @_ZN9rocsparseL22csrgemm_nnz_wf_per_rowILj256ELj8ELj64ELj79EilEEvT4_PKS1_S3_PKT3_S3_S6_S3_S6_S3_PS4_21rocsparse_index_base_S8_S8_bb
; %bb.0:
	s_clause 0x2
	s_load_b64 s[24:25], s[0:1], 0x48
	s_load_b256 s[16:23], s[0:1], 0x8
	s_load_b256 s[4:11], s[0:1], 0x28
	v_and_b32_e32 v10, 7, v0
	v_lshrrev_b32_e32 v4, 3, v0
	s_mov_b32 s2, 0
	s_delay_alu instid0(VALU_DEP_2) | instskip(NEXT) | instid1(VALU_DEP_1)
	v_dual_mov_b32 v0, -1 :: v_dual_lshlrev_b32 v1, 3, v10
	v_lshl_or_b32 v3, v4, 9, v1
	s_delay_alu instid0(VALU_DEP_2)
	v_mov_b32_e32 v1, v0
	v_or_b32_e32 v2, -8, v10
.LBB19_1:                               ; =>This Inner Loop Header: Depth=1
	s_delay_alu instid0(VALU_DEP_1) | instskip(SKIP_4) | instid1(SALU_CYCLE_1)
	v_add_nc_u32_e32 v2, 8, v2
	ds_store_b64 v3, v[0:1]
	v_add_nc_u32_e32 v3, 64, v3
	v_cmp_lt_u32_e32 vcc_lo, 55, v2
	s_or_b32 s2, vcc_lo, s2
	s_and_not1_b32 exec_lo, exec_lo, s2
	s_cbranch_execnz .LBB19_1
; %bb.2:
	s_or_b32 exec_lo, exec_lo, s2
	s_load_b64 s[2:3], s[0:1], 0x0
	s_lshl_b32 s12, s15, 5
	v_mov_b32_e32 v1, 0
	v_and_or_b32 v0, 0x1fffffe0, s12, v4
	s_waitcnt lgkmcnt(0)
	buffer_gl0_inv
	v_cmp_gt_i64_e32 vcc_lo, s[2:3], v[0:1]
	s_and_saveexec_b32 s2, vcc_lo
	s_cbranch_execz .LBB19_39
; %bb.3:
	s_cmp_eq_u64 s[18:19], 0
	s_cbranch_scc1 .LBB19_5
; %bb.4:
	s_load_b64 s[2:3], s[16:17], 0x0
	v_lshlrev_b32_e32 v0, 3, v0
	s_waitcnt lgkmcnt(0)
	s_lshl_b64 s[2:3], s[2:3], 3
	s_delay_alu instid0(SALU_CYCLE_1)
	s_add_u32 s2, s18, s2
	s_addc_u32 s3, s19, s3
	global_load_b64 v[0:1], v0, s[2:3]
.LBB19_5:
	s_load_b128 s[12:15], s[0:1], 0x50
	v_dual_mov_b32 v2, 0 :: v_dual_lshlrev_b32 v11, 9, v4
	s_waitcnt vmcnt(0)
	v_lshlrev_b64 v[0:1], 2, v[0:1]
	v_mov_b32_e32 v3, 0
	s_waitcnt lgkmcnt(0)
	s_bitcmp0_b32 s15, 0
	s_cbranch_scc1 .LBB19_23
; %bb.6:
	s_delay_alu instid0(VALU_DEP_2)
	v_add_co_u32 v2, vcc_lo, s20, v0
	v_add_co_ci_u32_e32 v3, vcc_lo, s21, v1, vcc_lo
	v_subrev_nc_u32_e32 v4, s12, v10
	s_mov_b32 s3, exec_lo
	global_load_b64 v[2:3], v[2:3], off
	s_waitcnt vmcnt(0)
	v_subrev_nc_u32_e32 v12, s12, v3
	v_add_nc_u32_e32 v4, v4, v2
	v_mov_b32_e32 v2, 0
	v_mov_b32_e32 v3, 0
	s_delay_alu instid0(VALU_DEP_3)
	v_cmpx_lt_i32_e64 v4, v12
	s_cbranch_execz .LBB19_22
; %bb.7:
	v_mov_b32_e32 v2, 0
	v_mov_b32_e32 v3, 0
	s_mov_b32 s15, 0
	s_mov_b32 s16, s13
	s_branch .LBB19_10
.LBB19_8:                               ;   in Loop: Header=BB19_10 Depth=1
	s_or_b32 exec_lo, exec_lo, s18
.LBB19_9:                               ;   in Loop: Header=BB19_10 Depth=1
	s_delay_alu instid0(SALU_CYCLE_1) | instskip(SKIP_1) | instid1(VALU_DEP_1)
	s_or_b32 exec_lo, exec_lo, s17
	v_add_nc_u32_e32 v4, 8, v4
	v_cmp_ge_i32_e32 vcc_lo, v4, v12
	s_or_b32 s15, vcc_lo, s15
	s_delay_alu instid0(SALU_CYCLE_1)
	s_and_not1_b32 exec_lo, exec_lo, s15
	s_cbranch_execz .LBB19_21
.LBB19_10:                              ; =>This Loop Header: Depth=1
                                        ;     Child Loop BB19_13 Depth 2
                                        ;       Child Loop BB19_16 Depth 3
	v_ashrrev_i32_e32 v5, 31, v4
	s_mov_b32 s17, exec_lo
	s_delay_alu instid0(VALU_DEP_1) | instskip(NEXT) | instid1(VALU_DEP_1)
	v_lshlrev_b64 v[5:6], 3, v[4:5]
	v_add_co_u32 v5, vcc_lo, s22, v5
	s_delay_alu instid0(VALU_DEP_2) | instskip(SKIP_4) | instid1(VALU_DEP_1)
	v_add_co_ci_u32_e32 v6, vcc_lo, s23, v6, vcc_lo
	global_load_b64 v[5:6], v[5:6], off
	s_waitcnt vmcnt(0)
	v_sub_co_u32 v5, vcc_lo, v5, s12
	v_subrev_co_ci_u32_e32 v6, vcc_lo, 0, v6, vcc_lo
	v_lshlrev_b64 v[5:6], 2, v[5:6]
	s_delay_alu instid0(VALU_DEP_1) | instskip(NEXT) | instid1(VALU_DEP_2)
	v_add_co_u32 v5, vcc_lo, s4, v5
	v_add_co_ci_u32_e32 v6, vcc_lo, s5, v6, vcc_lo
	global_load_b64 v[5:6], v[5:6], off
	s_waitcnt vmcnt(0)
	v_cmpx_lt_i32_e64 v5, v6
	s_cbranch_execz .LBB19_9
; %bb.11:                               ;   in Loop: Header=BB19_10 Depth=1
	v_subrev_nc_u32_e32 v13, s13, v6
	v_subrev_nc_u32_e32 v5, s13, v5
	s_mov_b32 s18, 0
	s_branch .LBB19_13
.LBB19_12:                              ;   in Loop: Header=BB19_13 Depth=2
	s_or_b32 exec_lo, exec_lo, s20
	v_add_nc_u32_e32 v5, 1, v5
	v_cndmask_b32_e64 v6, 0, 1, s19
	s_delay_alu instid0(VALU_DEP_2) | instskip(NEXT) | instid1(VALU_DEP_2)
	v_cmp_ge_i32_e32 vcc_lo, v5, v13
	v_add_co_u32 v2, s2, v2, v6
	s_delay_alu instid0(VALU_DEP_1) | instskip(SKIP_1) | instid1(SALU_CYCLE_1)
	v_add_co_ci_u32_e64 v3, s2, 0, v3, s2
	s_or_b32 s18, vcc_lo, s18
	s_and_not1_b32 exec_lo, exec_lo, s18
	s_cbranch_execz .LBB19_8
.LBB19_13:                              ;   Parent Loop BB19_10 Depth=1
                                        ; =>  This Loop Header: Depth=2
                                        ;       Child Loop BB19_16 Depth 3
	s_delay_alu instid0(VALU_DEP_1) | instskip(SKIP_1) | instid1(VALU_DEP_1)
	v_ashrrev_i32_e32 v6, 31, v5
	s_mov_b32 s20, 0
                                        ; implicit-def: $sgpr19
                                        ; implicit-def: $sgpr21
                                        ; implicit-def: $sgpr26
                                        ; implicit-def: $sgpr27
	v_lshlrev_b64 v[6:7], 3, v[5:6]
	s_delay_alu instid0(VALU_DEP_1) | instskip(NEXT) | instid1(VALU_DEP_2)
	v_add_co_u32 v6, vcc_lo, s6, v6
	v_add_co_ci_u32_e32 v7, vcc_lo, s7, v7, vcc_lo
	global_load_b64 v[6:7], v[6:7], off
	s_waitcnt vmcnt(0)
	v_sub_co_u32 v6, vcc_lo, v6, s16
	v_subrev_co_ci_u32_e32 v7, vcc_lo, 0, v7, vcc_lo
	s_delay_alu instid0(VALU_DEP_2) | instskip(NEXT) | instid1(VALU_DEP_1)
	v_mul_lo_u32 v8, v6, 15
	v_and_b32_e32 v14, 63, v8
	s_branch .LBB19_16
.LBB19_14:                              ;   in Loop: Header=BB19_16 Depth=3
	s_or_b32 exec_lo, exec_lo, s31
	s_delay_alu instid0(SALU_CYCLE_1)
	s_and_not1_b32 s2, s26, exec_lo
	s_and_b32 s26, s30, exec_lo
	s_and_not1_b32 s21, s21, exec_lo
	s_and_b32 s27, s29, exec_lo
	s_or_b32 s26, s2, s26
	s_or_b32 s21, s21, s27
                                        ; implicit-def: $sgpr27
.LBB19_15:                              ;   in Loop: Header=BB19_16 Depth=3
	s_or_b32 exec_lo, exec_lo, s28
	s_xor_b32 s2, s21, -1
	s_delay_alu instid0(SALU_CYCLE_1) | instskip(NEXT) | instid1(SALU_CYCLE_1)
	s_and_b32 s2, exec_lo, s2
	s_or_b32 s20, s2, s20
	s_and_not1_b32 s2, s27, exec_lo
	s_and_b32 s28, s26, exec_lo
	s_and_not1_b32 s19, s19, exec_lo
	s_or_b32 s27, s2, s28
	s_or_b32 s19, s19, s28
	s_and_not1_b32 exec_lo, exec_lo, s20
	s_cbranch_execz .LBB19_12
.LBB19_16:                              ;   Parent Loop BB19_10 Depth=1
                                        ;     Parent Loop BB19_13 Depth=2
                                        ; =>    This Inner Loop Header: Depth=3
	s_delay_alu instid0(VALU_DEP_1)
	v_lshl_add_u32 v15, v14, 3, v11
	s_and_not1_b32 s26, s26, exec_lo
	s_and_not1_b32 s21, s21, exec_lo
	s_mov_b32 s28, exec_lo
	ds_load_b64 v[8:9], v15
	s_waitcnt lgkmcnt(0)
	v_cmpx_ne_u64_e64 v[8:9], v[6:7]
	s_cbranch_execz .LBB19_15
; %bb.17:                               ;   in Loop: Header=BB19_16 Depth=3
	s_mov_b32 s2, exec_lo
                                        ; implicit-def: $sgpr30
                                        ; implicit-def: $sgpr29
	v_cmpx_ne_u64_e32 -1, v[8:9]
	s_xor_b32 s2, exec_lo, s2
; %bb.18:                               ;   in Loop: Header=BB19_16 Depth=3
	v_add_nc_u32_e32 v8, 1, v14
	s_mov_b32 s29, -1
	s_and_b32 s30, s27, exec_lo
                                        ; implicit-def: $vgpr15
	s_delay_alu instid0(VALU_DEP_1)
	v_and_b32_e32 v14, 63, v8
; %bb.19:                               ;   in Loop: Header=BB19_16 Depth=3
	s_and_not1_saveexec_b32 s31, s2
	s_cbranch_execz .LBB19_14
; %bb.20:                               ;   in Loop: Header=BB19_16 Depth=3
	v_mov_b32_e32 v8, -1
	v_mov_b32_e32 v9, -1
	s_and_not1_b32 s29, s29, exec_lo
	s_and_not1_b32 s30, s30, exec_lo
	ds_cmpstore_rtn_b64 v[8:9], v15, v[6:7], v[8:9]
	s_waitcnt lgkmcnt(0)
	v_cmp_eq_u64_e32 vcc_lo, -1, v[8:9]
	v_cmp_ne_u64_e64 s2, -1, v[8:9]
	s_or_b32 s27, vcc_lo, s27
	s_delay_alu instid0(VALU_DEP_1)
	s_and_b32 s2, s2, exec_lo
	s_and_b32 s27, s27, exec_lo
	s_or_b32 s29, s29, s2
	s_or_b32 s30, s30, s27
	s_branch .LBB19_14
.LBB19_21:
	s_or_b32 exec_lo, exec_lo, s15
.LBB19_22:
	s_delay_alu instid0(SALU_CYCLE_1)
	s_or_b32 exec_lo, exec_lo, s3
.LBB19_23:
	s_load_b32 s0, s[0:1], 0x5c
	s_waitcnt lgkmcnt(0)
	s_bfe_u32 s0, s0, 0x10008
	s_delay_alu instid0(SALU_CYCLE_1)
	s_cmp_eq_u32 s0, 0
	s_cbranch_scc1 .LBB19_37
; %bb.24:
	v_add_co_u32 v4, vcc_lo, s8, v0
	v_add_co_ci_u32_e32 v5, vcc_lo, s9, v1, vcc_lo
	v_subrev_nc_u32_e32 v6, s14, v10
	s_mov_b32 s1, exec_lo
	global_load_b64 v[4:5], v[4:5], off
	s_waitcnt vmcnt(0)
	v_subrev_nc_u32_e32 v9, s14, v5
	v_add_nc_u32_e32 v4, v6, v4
	s_delay_alu instid0(VALU_DEP_1)
	v_cmpx_lt_i32_e64 v4, v9
	s_cbranch_execz .LBB19_36
; %bb.25:
	s_mov_b32 s2, 0
	s_branch .LBB19_27
.LBB19_26:                              ;   in Loop: Header=BB19_27 Depth=1
	s_or_b32 exec_lo, exec_lo, s4
	v_add_nc_u32_e32 v4, 8, v4
	v_cndmask_b32_e64 v5, 0, 1, s3
	s_delay_alu instid0(VALU_DEP_2) | instskip(NEXT) | instid1(VALU_DEP_2)
	v_cmp_ge_i32_e32 vcc_lo, v4, v9
	v_add_co_u32 v2, s0, v2, v5
	s_delay_alu instid0(VALU_DEP_1) | instskip(SKIP_1) | instid1(SALU_CYCLE_1)
	v_add_co_ci_u32_e64 v3, s0, 0, v3, s0
	s_or_b32 s2, vcc_lo, s2
	s_and_not1_b32 exec_lo, exec_lo, s2
	s_cbranch_execz .LBB19_35
.LBB19_27:                              ; =>This Loop Header: Depth=1
                                        ;     Child Loop BB19_30 Depth 2
	v_ashrrev_i32_e32 v5, 31, v4
	s_mov_b32 s4, 0
                                        ; implicit-def: $sgpr3
                                        ; implicit-def: $sgpr5
                                        ; implicit-def: $sgpr6
                                        ; implicit-def: $sgpr7
	s_delay_alu instid0(VALU_DEP_1) | instskip(NEXT) | instid1(VALU_DEP_1)
	v_lshlrev_b64 v[5:6], 3, v[4:5]
	v_add_co_u32 v5, vcc_lo, s10, v5
	s_delay_alu instid0(VALU_DEP_2) | instskip(SKIP_4) | instid1(VALU_DEP_2)
	v_add_co_ci_u32_e32 v6, vcc_lo, s11, v6, vcc_lo
	global_load_b64 v[5:6], v[5:6], off
	s_waitcnt vmcnt(0)
	v_sub_co_u32 v5, vcc_lo, v5, s14
	v_subrev_co_ci_u32_e32 v6, vcc_lo, 0, v6, vcc_lo
	v_mul_lo_u32 v7, v5, 15
	s_delay_alu instid0(VALU_DEP_1)
	v_and_b32_e32 v12, 63, v7
	s_branch .LBB19_30
.LBB19_28:                              ;   in Loop: Header=BB19_30 Depth=2
	s_or_b32 exec_lo, exec_lo, s13
	s_delay_alu instid0(SALU_CYCLE_1)
	s_and_not1_b32 s0, s6, exec_lo
	s_and_b32 s6, s12, exec_lo
	s_and_not1_b32 s5, s5, exec_lo
	s_and_b32 s7, s9, exec_lo
	s_or_b32 s6, s0, s6
	s_or_b32 s5, s5, s7
                                        ; implicit-def: $sgpr7
.LBB19_29:                              ;   in Loop: Header=BB19_30 Depth=2
	s_or_b32 exec_lo, exec_lo, s8
	s_xor_b32 s0, s5, -1
	s_delay_alu instid0(SALU_CYCLE_1) | instskip(NEXT) | instid1(SALU_CYCLE_1)
	s_and_b32 s0, exec_lo, s0
	s_or_b32 s4, s0, s4
	s_and_not1_b32 s0, s7, exec_lo
	s_and_b32 s8, s6, exec_lo
	s_and_not1_b32 s3, s3, exec_lo
	s_or_b32 s7, s0, s8
	s_or_b32 s3, s3, s8
	s_and_not1_b32 exec_lo, exec_lo, s4
	s_cbranch_execz .LBB19_26
.LBB19_30:                              ;   Parent Loop BB19_27 Depth=1
                                        ; =>  This Inner Loop Header: Depth=2
	s_delay_alu instid0(VALU_DEP_1)
	v_lshl_add_u32 v13, v12, 3, v11
	s_and_not1_b32 s6, s6, exec_lo
	s_and_not1_b32 s5, s5, exec_lo
	s_mov_b32 s8, exec_lo
	ds_load_b64 v[7:8], v13
	s_waitcnt lgkmcnt(0)
	v_cmpx_ne_u64_e64 v[7:8], v[5:6]
	s_cbranch_execz .LBB19_29
; %bb.31:                               ;   in Loop: Header=BB19_30 Depth=2
	s_mov_b32 s0, exec_lo
                                        ; implicit-def: $sgpr12
                                        ; implicit-def: $sgpr9
	v_cmpx_ne_u64_e32 -1, v[7:8]
	s_xor_b32 s0, exec_lo, s0
; %bb.32:                               ;   in Loop: Header=BB19_30 Depth=2
	v_add_nc_u32_e32 v7, 1, v12
	s_mov_b32 s9, -1
	s_and_b32 s12, s7, exec_lo
                                        ; implicit-def: $vgpr13
	s_delay_alu instid0(VALU_DEP_1)
	v_and_b32_e32 v12, 63, v7
; %bb.33:                               ;   in Loop: Header=BB19_30 Depth=2
	s_and_not1_saveexec_b32 s13, s0
	s_cbranch_execz .LBB19_28
; %bb.34:                               ;   in Loop: Header=BB19_30 Depth=2
	v_mov_b32_e32 v7, -1
	v_mov_b32_e32 v8, -1
	s_and_not1_b32 s9, s9, exec_lo
	s_and_not1_b32 s12, s12, exec_lo
	ds_cmpstore_rtn_b64 v[7:8], v13, v[5:6], v[7:8]
	s_waitcnt lgkmcnt(0)
	v_cmp_eq_u64_e32 vcc_lo, -1, v[7:8]
	v_cmp_ne_u64_e64 s0, -1, v[7:8]
	s_or_b32 s7, vcc_lo, s7
	s_delay_alu instid0(VALU_DEP_1)
	s_and_b32 s0, s0, exec_lo
	s_and_b32 s7, s7, exec_lo
	s_or_b32 s9, s9, s0
	s_or_b32 s12, s12, s7
	s_branch .LBB19_28
.LBB19_35:
	s_or_b32 exec_lo, exec_lo, s2
.LBB19_36:
	s_delay_alu instid0(SALU_CYCLE_1)
	s_or_b32 exec_lo, exec_lo, s1
.LBB19_37:
	v_mbcnt_lo_u32_b32 v3, -1, 0
	s_delay_alu instid0(VALU_DEP_1) | instskip(SKIP_1) | instid1(VALU_DEP_2)
	v_xor_b32_e32 v4, 4, v3
	v_xor_b32_e32 v5, 2, v3
	v_cmp_gt_i32_e32 vcc_lo, 32, v4
	v_cndmask_b32_e32 v4, v3, v4, vcc_lo
	s_delay_alu instid0(VALU_DEP_3) | instskip(SKIP_1) | instid1(VALU_DEP_1)
	v_cmp_gt_i32_e32 vcc_lo, 32, v5
	v_cndmask_b32_e32 v5, v3, v5, vcc_lo
	v_lshlrev_b32_e32 v5, 2, v5
	s_delay_alu instid0(VALU_DEP_4)
	v_lshlrev_b32_e32 v4, 2, v4
	ds_bpermute_b32 v4, v4, v2
	s_waitcnt lgkmcnt(0)
	v_add_nc_u32_e32 v2, v2, v4
	ds_bpermute_b32 v4, v5, v2
	v_xor_b32_e32 v5, 1, v3
	s_delay_alu instid0(VALU_DEP_1) | instskip(SKIP_2) | instid1(VALU_DEP_2)
	v_cmp_gt_i32_e32 vcc_lo, 32, v5
	v_cndmask_b32_e32 v3, v3, v5, vcc_lo
	v_cmp_eq_u32_e32 vcc_lo, 7, v10
	v_lshlrev_b32_e32 v3, 2, v3
	s_waitcnt lgkmcnt(0)
	v_add_nc_u32_e32 v2, v4, v2
	ds_bpermute_b32 v3, v3, v2
	s_and_b32 exec_lo, exec_lo, vcc_lo
	s_cbranch_execz .LBB19_39
; %bb.38:
	v_add_co_u32 v0, vcc_lo, s24, v0
	v_add_co_ci_u32_e32 v1, vcc_lo, s25, v1, vcc_lo
	s_waitcnt lgkmcnt(0)
	v_add_nc_u32_e32 v2, v3, v2
	global_store_b32 v[0:1], v2, off
.LBB19_39:
	s_nop 0
	s_sendmsg sendmsg(MSG_DEALLOC_VGPRS)
	s_endpgm
	.section	.rodata,"a",@progbits
	.p2align	6, 0x0
	.amdhsa_kernel _ZN9rocsparseL22csrgemm_nnz_wf_per_rowILj256ELj8ELj64ELj79EilEEvT4_PKS1_S3_PKT3_S3_S6_S3_S6_S3_PS4_21rocsparse_index_base_S8_S8_bb
		.amdhsa_group_segment_fixed_size 16384
		.amdhsa_private_segment_fixed_size 0
		.amdhsa_kernarg_size 96
		.amdhsa_user_sgpr_count 15
		.amdhsa_user_sgpr_dispatch_ptr 0
		.amdhsa_user_sgpr_queue_ptr 0
		.amdhsa_user_sgpr_kernarg_segment_ptr 1
		.amdhsa_user_sgpr_dispatch_id 0
		.amdhsa_user_sgpr_private_segment_size 0
		.amdhsa_wavefront_size32 1
		.amdhsa_uses_dynamic_stack 0
		.amdhsa_enable_private_segment 0
		.amdhsa_system_sgpr_workgroup_id_x 1
		.amdhsa_system_sgpr_workgroup_id_y 0
		.amdhsa_system_sgpr_workgroup_id_z 0
		.amdhsa_system_sgpr_workgroup_info 0
		.amdhsa_system_vgpr_workitem_id 0
		.amdhsa_next_free_vgpr 16
		.amdhsa_next_free_sgpr 32
		.amdhsa_reserve_vcc 1
		.amdhsa_float_round_mode_32 0
		.amdhsa_float_round_mode_16_64 0
		.amdhsa_float_denorm_mode_32 3
		.amdhsa_float_denorm_mode_16_64 3
		.amdhsa_dx10_clamp 1
		.amdhsa_ieee_mode 1
		.amdhsa_fp16_overflow 0
		.amdhsa_workgroup_processor_mode 1
		.amdhsa_memory_ordered 1
		.amdhsa_forward_progress 0
		.amdhsa_shared_vgpr_count 0
		.amdhsa_exception_fp_ieee_invalid_op 0
		.amdhsa_exception_fp_denorm_src 0
		.amdhsa_exception_fp_ieee_div_zero 0
		.amdhsa_exception_fp_ieee_overflow 0
		.amdhsa_exception_fp_ieee_underflow 0
		.amdhsa_exception_fp_ieee_inexact 0
		.amdhsa_exception_int_div_zero 0
	.end_amdhsa_kernel
	.section	.text._ZN9rocsparseL22csrgemm_nnz_wf_per_rowILj256ELj8ELj64ELj79EilEEvT4_PKS1_S3_PKT3_S3_S6_S3_S6_S3_PS4_21rocsparse_index_base_S8_S8_bb,"axG",@progbits,_ZN9rocsparseL22csrgemm_nnz_wf_per_rowILj256ELj8ELj64ELj79EilEEvT4_PKS1_S3_PKT3_S3_S6_S3_S6_S3_PS4_21rocsparse_index_base_S8_S8_bb,comdat
.Lfunc_end19:
	.size	_ZN9rocsparseL22csrgemm_nnz_wf_per_rowILj256ELj8ELj64ELj79EilEEvT4_PKS1_S3_PKT3_S3_S6_S3_S6_S3_PS4_21rocsparse_index_base_S8_S8_bb, .Lfunc_end19-_ZN9rocsparseL22csrgemm_nnz_wf_per_rowILj256ELj8ELj64ELj79EilEEvT4_PKS1_S3_PKT3_S3_S6_S3_S6_S3_PS4_21rocsparse_index_base_S8_S8_bb
                                        ; -- End function
	.section	.AMDGPU.csdata,"",@progbits
; Kernel info:
; codeLenInByte = 1532
; NumSgprs: 34
; NumVgprs: 16
; ScratchSize: 0
; MemoryBound: 0
; FloatMode: 240
; IeeeMode: 1
; LDSByteSize: 16384 bytes/workgroup (compile time only)
; SGPRBlocks: 4
; VGPRBlocks: 1
; NumSGPRsForWavesPerEU: 34
; NumVGPRsForWavesPerEU: 16
; Occupancy: 16
; WaveLimiterHint : 1
; COMPUTE_PGM_RSRC2:SCRATCH_EN: 0
; COMPUTE_PGM_RSRC2:USER_SGPR: 15
; COMPUTE_PGM_RSRC2:TRAP_HANDLER: 0
; COMPUTE_PGM_RSRC2:TGID_X_EN: 1
; COMPUTE_PGM_RSRC2:TGID_Y_EN: 0
; COMPUTE_PGM_RSRC2:TGID_Z_EN: 0
; COMPUTE_PGM_RSRC2:TIDIG_COMP_CNT: 0
	.section	.text._ZN9rocsparseL25csrgemm_nnz_block_per_rowILj128ELj8ELj512ELj79EilEEvPKT4_S3_PKT3_S3_S6_S3_S6_S3_PS4_21rocsparse_index_base_S8_S8_bb,"axG",@progbits,_ZN9rocsparseL25csrgemm_nnz_block_per_rowILj128ELj8ELj512ELj79EilEEvPKT4_S3_PKT3_S3_S6_S3_S6_S3_PS4_21rocsparse_index_base_S8_S8_bb,comdat
	.globl	_ZN9rocsparseL25csrgemm_nnz_block_per_rowILj128ELj8ELj512ELj79EilEEvPKT4_S3_PKT3_S3_S6_S3_S6_S3_PS4_21rocsparse_index_base_S8_S8_bb ; -- Begin function _ZN9rocsparseL25csrgemm_nnz_block_per_rowILj128ELj8ELj512ELj79EilEEvPKT4_S3_PKT3_S3_S6_S3_S6_S3_PS4_21rocsparse_index_base_S8_S8_bb
	.p2align	8
	.type	_ZN9rocsparseL25csrgemm_nnz_block_per_rowILj128ELj8ELj512ELj79EilEEvPKT4_S3_PKT3_S3_S6_S3_S6_S3_PS4_21rocsparse_index_base_S8_S8_bb,@function
_ZN9rocsparseL25csrgemm_nnz_block_per_rowILj128ELj8ELj512ELj79EilEEvPKT4_S3_PKT3_S3_S6_S3_S6_S3_PS4_21rocsparse_index_base_S8_S8_bb: ; @_ZN9rocsparseL25csrgemm_nnz_block_per_rowILj128ELj8ELj512ELj79EilEEvPKT4_S3_PKT3_S3_S6_S3_S6_S3_PS4_21rocsparse_index_base_S8_S8_bb
; %bb.0:
	s_mov_b32 s2, s15
	s_load_b256 s[8:15], s[0:1], 0x0
	s_mov_b32 s3, 0
	s_load_b64 s[20:21], s[0:1], 0x40
	v_lshl_add_u32 v9, v0, 3, 0
	s_waitcnt lgkmcnt(0)
	s_load_b64 s[4:5], s[8:9], 0x0
	s_waitcnt lgkmcnt(0)
	s_lshl_b64 s[4:5], s[4:5], 3
	s_delay_alu instid0(SALU_CYCLE_1)
	s_add_u32 s6, s10, s4
	s_addc_u32 s7, s11, s5
	s_lshl_b64 s[4:5], s[2:3], 3
	s_mov_b32 s2, exec_lo
	s_add_u32 s16, s6, s4
	s_addc_u32 s17, s7, s5
	s_load_b256 s[4:11], s[0:1], 0x20
	s_load_b64 s[22:23], s[16:17], 0x0
	v_cmpx_gt_u32_e32 0x200, v0
	s_cbranch_execz .LBB20_3
; %bb.1:
	v_dual_mov_b32 v1, -1 :: v_dual_mov_b32 v4, v9
	v_or_b32_e32 v3, 0xffffff80, v0
	s_delay_alu instid0(VALU_DEP_2)
	v_mov_b32_e32 v2, v1
.LBB20_2:                               ; =>This Inner Loop Header: Depth=1
	s_delay_alu instid0(VALU_DEP_2) | instskip(SKIP_4) | instid1(SALU_CYCLE_1)
	v_add_nc_u32_e32 v3, 0x80, v3
	ds_store_b64 v4, v[1:2]
	v_add_nc_u32_e32 v4, 0x400, v4
	v_cmp_lt_u32_e32 vcc_lo, 0x17f, v3
	s_or_b32 s3, vcc_lo, s3
	s_and_not1_b32 exec_lo, exec_lo, s3
	s_cbranch_execnz .LBB20_2
.LBB20_3:
	s_or_b32 exec_lo, exec_lo, s2
	s_load_b128 s[16:19], s[0:1], 0x48
	v_mov_b32_e32 v1, 0
	v_dual_mov_b32 v2, 0 :: v_dual_and_b32 v11, 7, v0
	v_lshrrev_b32_e32 v10, 3, v0
	s_waitcnt lgkmcnt(0)
	s_barrier
	buffer_gl0_inv
	s_bitcmp1_b32 s19, 0
	s_cselect_b32 s2, -1, 0
	s_delay_alu instid0(SALU_CYCLE_1)
	s_and_b32 vcc_lo, exec_lo, s2
	s_cbranch_vccz .LBB20_21
; %bb.4:
	s_lshl_b64 s[2:3], s[22:23], 2
	v_subrev_nc_u32_e32 v1, s16, v10
	s_add_u32 s2, s12, s2
	s_addc_u32 s3, s13, s3
	s_load_b64 s[2:3], s[2:3], 0x0
	s_waitcnt lgkmcnt(0)
	v_add_nc_u32_e32 v3, s2, v1
	v_mov_b32_e32 v1, 0
	v_mov_b32_e32 v2, 0
	s_sub_i32 s12, s3, s16
	s_mov_b32 s3, exec_lo
	v_cmpx_gt_i32_e64 s12, v3
	s_cbranch_execz .LBB20_20
; %bb.5:
	v_mov_b32_e32 v1, 0
	v_mov_b32_e32 v2, 0
	v_subrev_nc_u32_e32 v12, s17, v11
	s_mov_b32 s13, 0
	s_mov_b32 s19, s17
	s_branch .LBB20_8
.LBB20_6:                               ;   in Loop: Header=BB20_8 Depth=1
	s_or_b32 exec_lo, exec_lo, s25
.LBB20_7:                               ;   in Loop: Header=BB20_8 Depth=1
	s_delay_alu instid0(SALU_CYCLE_1) | instskip(SKIP_1) | instid1(VALU_DEP_1)
	s_or_b32 exec_lo, exec_lo, s24
	v_add_nc_u32_e32 v3, 16, v3
	v_cmp_le_i32_e32 vcc_lo, s12, v3
	s_or_b32 s13, vcc_lo, s13
	s_delay_alu instid0(SALU_CYCLE_1)
	s_and_not1_b32 exec_lo, exec_lo, s13
	s_cbranch_execz .LBB20_19
.LBB20_8:                               ; =>This Loop Header: Depth=1
                                        ;     Child Loop BB20_11 Depth 2
                                        ;       Child Loop BB20_14 Depth 3
	v_ashrrev_i32_e32 v4, 31, v3
	s_mov_b32 s24, exec_lo
	s_delay_alu instid0(VALU_DEP_1) | instskip(NEXT) | instid1(VALU_DEP_1)
	v_lshlrev_b64 v[4:5], 3, v[3:4]
	v_add_co_u32 v4, vcc_lo, s14, v4
	s_delay_alu instid0(VALU_DEP_2) | instskip(SKIP_4) | instid1(VALU_DEP_1)
	v_add_co_ci_u32_e32 v5, vcc_lo, s15, v5, vcc_lo
	global_load_b64 v[4:5], v[4:5], off
	s_waitcnt vmcnt(0)
	v_sub_co_u32 v4, vcc_lo, v4, s16
	v_subrev_co_ci_u32_e32 v5, vcc_lo, 0, v5, vcc_lo
	v_lshlrev_b64 v[4:5], 2, v[4:5]
	s_delay_alu instid0(VALU_DEP_1) | instskip(NEXT) | instid1(VALU_DEP_2)
	v_add_co_u32 v4, vcc_lo, s4, v4
	v_add_co_ci_u32_e32 v5, vcc_lo, s5, v5, vcc_lo
	global_load_b64 v[4:5], v[4:5], off
	s_waitcnt vmcnt(0)
	v_subrev_nc_u32_e32 v13, s17, v5
	v_add_nc_u32_e32 v4, v12, v4
	s_delay_alu instid0(VALU_DEP_1)
	v_cmpx_lt_i32_e64 v4, v13
	s_cbranch_execz .LBB20_7
; %bb.9:                                ;   in Loop: Header=BB20_8 Depth=1
	s_mov_b32 s25, 0
	s_branch .LBB20_11
.LBB20_10:                              ;   in Loop: Header=BB20_11 Depth=2
	s_or_b32 exec_lo, exec_lo, s27
	v_add_nc_u32_e32 v4, 8, v4
	v_cndmask_b32_e64 v5, 0, 1, s26
	s_delay_alu instid0(VALU_DEP_2) | instskip(NEXT) | instid1(VALU_DEP_2)
	v_cmp_ge_i32_e32 vcc_lo, v4, v13
	v_add_co_u32 v1, s2, v1, v5
	s_delay_alu instid0(VALU_DEP_1) | instskip(SKIP_1) | instid1(SALU_CYCLE_1)
	v_add_co_ci_u32_e64 v2, s2, 0, v2, s2
	s_or_b32 s25, vcc_lo, s25
	s_and_not1_b32 exec_lo, exec_lo, s25
	s_cbranch_execz .LBB20_6
.LBB20_11:                              ;   Parent Loop BB20_8 Depth=1
                                        ; =>  This Loop Header: Depth=2
                                        ;       Child Loop BB20_14 Depth 3
	v_ashrrev_i32_e32 v5, 31, v4
	s_mov_b32 s27, 0
                                        ; implicit-def: $sgpr26
                                        ; implicit-def: $sgpr28
                                        ; implicit-def: $sgpr29
                                        ; implicit-def: $sgpr30
	s_delay_alu instid0(VALU_DEP_1) | instskip(NEXT) | instid1(VALU_DEP_1)
	v_lshlrev_b64 v[5:6], 3, v[4:5]
	v_add_co_u32 v5, vcc_lo, s6, v5
	s_delay_alu instid0(VALU_DEP_2) | instskip(SKIP_4) | instid1(VALU_DEP_2)
	v_add_co_ci_u32_e32 v6, vcc_lo, s7, v6, vcc_lo
	global_load_b64 v[5:6], v[5:6], off
	s_waitcnt vmcnt(0)
	v_sub_co_u32 v5, vcc_lo, v5, s19
	v_subrev_co_ci_u32_e32 v6, vcc_lo, 0, v6, vcc_lo
	v_mul_lo_u32 v7, 0x4f, v5
	s_delay_alu instid0(VALU_DEP_1)
	v_and_b32_e32 v14, 0x1ff, v7
	s_branch .LBB20_14
.LBB20_12:                              ;   in Loop: Header=BB20_14 Depth=3
	s_or_b32 exec_lo, exec_lo, s35
	s_delay_alu instid0(SALU_CYCLE_1)
	s_and_not1_b32 s2, s29, exec_lo
	s_and_b32 s29, s34, exec_lo
	s_and_not1_b32 s28, s28, exec_lo
	s_and_b32 s30, s33, exec_lo
	s_or_b32 s29, s2, s29
	s_or_b32 s28, s28, s30
                                        ; implicit-def: $sgpr30
.LBB20_13:                              ;   in Loop: Header=BB20_14 Depth=3
	s_or_b32 exec_lo, exec_lo, s31
	s_xor_b32 s2, s28, -1
	s_delay_alu instid0(SALU_CYCLE_1) | instskip(NEXT) | instid1(SALU_CYCLE_1)
	s_and_b32 s2, exec_lo, s2
	s_or_b32 s27, s2, s27
	s_and_not1_b32 s2, s30, exec_lo
	s_and_b32 s31, s29, exec_lo
	s_and_not1_b32 s26, s26, exec_lo
	s_or_b32 s30, s2, s31
	s_or_b32 s26, s26, s31
	s_and_not1_b32 exec_lo, exec_lo, s27
	s_cbranch_execz .LBB20_10
.LBB20_14:                              ;   Parent Loop BB20_8 Depth=1
                                        ;     Parent Loop BB20_11 Depth=2
                                        ; =>    This Inner Loop Header: Depth=3
	s_delay_alu instid0(VALU_DEP_1)
	v_lshl_add_u32 v15, v14, 3, 0
	s_and_not1_b32 s29, s29, exec_lo
	s_and_not1_b32 s28, s28, exec_lo
	s_mov_b32 s31, exec_lo
	ds_load_b64 v[7:8], v15
	s_waitcnt lgkmcnt(0)
	v_cmpx_ne_u64_e64 v[7:8], v[5:6]
	s_cbranch_execz .LBB20_13
; %bb.15:                               ;   in Loop: Header=BB20_14 Depth=3
	s_mov_b32 s2, exec_lo
                                        ; implicit-def: $sgpr34
                                        ; implicit-def: $sgpr33
	v_cmpx_ne_u64_e32 -1, v[7:8]
	s_xor_b32 s2, exec_lo, s2
; %bb.16:                               ;   in Loop: Header=BB20_14 Depth=3
	v_add_nc_u32_e32 v7, 1, v14
	s_mov_b32 s33, -1
	s_and_b32 s34, s30, exec_lo
                                        ; implicit-def: $vgpr15
	s_delay_alu instid0(VALU_DEP_1)
	v_and_b32_e32 v14, 0x1ff, v7
; %bb.17:                               ;   in Loop: Header=BB20_14 Depth=3
	s_and_not1_saveexec_b32 s35, s2
	s_cbranch_execz .LBB20_12
; %bb.18:                               ;   in Loop: Header=BB20_14 Depth=3
	v_mov_b32_e32 v7, -1
	v_mov_b32_e32 v8, -1
	s_and_not1_b32 s33, s33, exec_lo
	s_and_not1_b32 s34, s34, exec_lo
	ds_cmpstore_rtn_b64 v[7:8], v15, v[5:6], v[7:8]
	s_waitcnt lgkmcnt(0)
	v_cmp_eq_u64_e32 vcc_lo, -1, v[7:8]
	v_cmp_ne_u64_e64 s2, -1, v[7:8]
	s_or_b32 s30, vcc_lo, s30
	s_delay_alu instid0(VALU_DEP_1)
	s_and_b32 s2, s2, exec_lo
	s_and_b32 s30, s30, exec_lo
	s_or_b32 s33, s33, s2
	s_or_b32 s34, s34, s30
	s_branch .LBB20_12
.LBB20_19:
	s_or_b32 exec_lo, exec_lo, s13
.LBB20_20:
	s_delay_alu instid0(SALU_CYCLE_1)
	s_or_b32 exec_lo, exec_lo, s3
.LBB20_21:
	s_load_b32 s0, s[0:1], 0x54
	s_waitcnt lgkmcnt(0)
	s_bfe_u32 s0, s0, 0x10008
	s_delay_alu instid0(SALU_CYCLE_1)
	s_cmp_eq_u32 s0, 0
	s_cbranch_scc1 .LBB20_35
; %bb.22:
	s_lshl_b64 s[0:1], s[22:23], 2
	v_subrev_nc_u32_e32 v3, s18, v10
	s_add_u32 s0, s8, s0
	s_addc_u32 s1, s9, s1
	s_load_b64 s[0:1], s[0:1], 0x0
	s_waitcnt lgkmcnt(0)
	v_add_nc_u32_e32 v3, s0, v3
	s_sub_i32 s2, s1, s18
	s_mov_b32 s1, exec_lo
	s_delay_alu instid0(VALU_DEP_1)
	v_cmpx_gt_i32_e64 s2, v3
	s_cbranch_execz .LBB20_34
; %bb.23:
	s_mov_b32 s3, 0
	s_branch .LBB20_25
.LBB20_24:                              ;   in Loop: Header=BB20_25 Depth=1
	s_or_b32 exec_lo, exec_lo, s5
	v_add_nc_u32_e32 v3, 16, v3
	v_cndmask_b32_e64 v4, 0, 1, s4
	s_delay_alu instid0(VALU_DEP_2) | instskip(NEXT) | instid1(VALU_DEP_2)
	v_cmp_le_i32_e32 vcc_lo, s2, v3
	v_add_co_u32 v1, s0, v1, v4
	s_delay_alu instid0(VALU_DEP_1) | instskip(SKIP_1) | instid1(SALU_CYCLE_1)
	v_add_co_ci_u32_e64 v2, s0, 0, v2, s0
	s_or_b32 s3, vcc_lo, s3
	s_and_not1_b32 exec_lo, exec_lo, s3
	s_cbranch_execz .LBB20_33
.LBB20_25:                              ; =>This Loop Header: Depth=1
                                        ;     Child Loop BB20_28 Depth 2
	v_ashrrev_i32_e32 v4, 31, v3
	s_mov_b32 s5, 0
                                        ; implicit-def: $sgpr4
                                        ; implicit-def: $sgpr6
                                        ; implicit-def: $sgpr7
                                        ; implicit-def: $sgpr8
	s_delay_alu instid0(VALU_DEP_1) | instskip(NEXT) | instid1(VALU_DEP_1)
	v_lshlrev_b64 v[4:5], 3, v[3:4]
	v_add_co_u32 v4, vcc_lo, s10, v4
	s_delay_alu instid0(VALU_DEP_2) | instskip(SKIP_4) | instid1(VALU_DEP_2)
	v_add_co_ci_u32_e32 v5, vcc_lo, s11, v5, vcc_lo
	global_load_b64 v[4:5], v[4:5], off
	s_waitcnt vmcnt(0)
	v_sub_co_u32 v4, vcc_lo, v4, s18
	v_subrev_co_ci_u32_e32 v5, vcc_lo, 0, v5, vcc_lo
	v_mul_lo_u32 v6, 0x4f, v4
	s_delay_alu instid0(VALU_DEP_1)
	v_and_b32_e32 v8, 0x1ff, v6
	s_branch .LBB20_28
.LBB20_26:                              ;   in Loop: Header=BB20_28 Depth=2
	s_or_b32 exec_lo, exec_lo, s14
	s_delay_alu instid0(SALU_CYCLE_1)
	s_and_not1_b32 s0, s7, exec_lo
	s_and_b32 s7, s13, exec_lo
	s_and_not1_b32 s6, s6, exec_lo
	s_and_b32 s8, s12, exec_lo
	s_or_b32 s7, s0, s7
	s_or_b32 s6, s6, s8
                                        ; implicit-def: $sgpr8
.LBB20_27:                              ;   in Loop: Header=BB20_28 Depth=2
	s_or_b32 exec_lo, exec_lo, s9
	s_xor_b32 s0, s6, -1
	s_delay_alu instid0(SALU_CYCLE_1) | instskip(NEXT) | instid1(SALU_CYCLE_1)
	s_and_b32 s0, exec_lo, s0
	s_or_b32 s5, s0, s5
	s_and_not1_b32 s0, s8, exec_lo
	s_and_b32 s9, s7, exec_lo
	s_and_not1_b32 s4, s4, exec_lo
	s_or_b32 s8, s0, s9
	s_or_b32 s4, s4, s9
	s_and_not1_b32 exec_lo, exec_lo, s5
	s_cbranch_execz .LBB20_24
.LBB20_28:                              ;   Parent Loop BB20_25 Depth=1
                                        ; =>  This Inner Loop Header: Depth=2
	s_delay_alu instid0(VALU_DEP_1)
	v_lshl_add_u32 v12, v8, 3, 0
	s_and_not1_b32 s7, s7, exec_lo
	s_and_not1_b32 s6, s6, exec_lo
	s_mov_b32 s9, exec_lo
	ds_load_b64 v[6:7], v12
	s_waitcnt lgkmcnt(0)
	v_cmpx_ne_u64_e64 v[6:7], v[4:5]
	s_cbranch_execz .LBB20_27
; %bb.29:                               ;   in Loop: Header=BB20_28 Depth=2
	s_mov_b32 s0, exec_lo
                                        ; implicit-def: $sgpr13
                                        ; implicit-def: $sgpr12
	v_cmpx_ne_u64_e32 -1, v[6:7]
	s_xor_b32 s0, exec_lo, s0
; %bb.30:                               ;   in Loop: Header=BB20_28 Depth=2
	v_add_nc_u32_e32 v6, 1, v8
	s_mov_b32 s12, -1
	s_and_b32 s13, s8, exec_lo
                                        ; implicit-def: $vgpr12
	s_delay_alu instid0(VALU_DEP_1)
	v_and_b32_e32 v8, 0x1ff, v6
; %bb.31:                               ;   in Loop: Header=BB20_28 Depth=2
	s_and_not1_saveexec_b32 s14, s0
	s_cbranch_execz .LBB20_26
; %bb.32:                               ;   in Loop: Header=BB20_28 Depth=2
	v_mov_b32_e32 v6, -1
	v_mov_b32_e32 v7, -1
	s_and_not1_b32 s12, s12, exec_lo
	s_and_not1_b32 s13, s13, exec_lo
	ds_cmpstore_rtn_b64 v[6:7], v12, v[4:5], v[6:7]
	s_waitcnt lgkmcnt(0)
	v_cmp_eq_u64_e32 vcc_lo, -1, v[6:7]
	v_cmp_ne_u64_e64 s0, -1, v[6:7]
	s_or_b32 s8, vcc_lo, s8
	s_delay_alu instid0(VALU_DEP_1)
	s_and_b32 s0, s0, exec_lo
	s_and_b32 s8, s8, exec_lo
	s_or_b32 s12, s12, s0
	s_or_b32 s13, s13, s8
	s_branch .LBB20_26
.LBB20_33:
	s_or_b32 exec_lo, exec_lo, s3
.LBB20_34:
	s_delay_alu instid0(SALU_CYCLE_1)
	s_or_b32 exec_lo, exec_lo, s1
.LBB20_35:
	v_mbcnt_lo_u32_b32 v3, -1, 0
	s_mov_b32 s0, exec_lo
	s_barrier
	buffer_gl0_inv
	v_xor_b32_e32 v4, 4, v3
	v_xor_b32_e32 v5, 2, v3
	;; [unrolled: 1-line block ×3, first 2 shown]
	s_delay_alu instid0(VALU_DEP_3) | instskip(SKIP_1) | instid1(VALU_DEP_4)
	v_cmp_gt_i32_e32 vcc_lo, 32, v4
	v_cndmask_b32_e32 v4, v3, v4, vcc_lo
	v_cmp_gt_i32_e32 vcc_lo, 32, v5
	v_cndmask_b32_e32 v5, v3, v5, vcc_lo
	s_delay_alu instid0(VALU_DEP_1) | instskip(NEXT) | instid1(VALU_DEP_4)
	v_lshlrev_b32_e32 v5, 2, v5
	v_lshlrev_b32_e32 v4, 2, v4
	ds_bpermute_b32 v6, v4, v1
	ds_bpermute_b32 v7, v4, v2
	s_waitcnt lgkmcnt(1)
	v_add_co_u32 v1, vcc_lo, v1, v6
	v_add_co_ci_u32_e32 v2, vcc_lo, 0, v2, vcc_lo
	ds_bpermute_b32 v6, v5, v1
	v_add_co_u32 v1, vcc_lo, 0, v1
	s_waitcnt lgkmcnt(1)
	v_add_co_ci_u32_e32 v2, vcc_lo, v7, v2, vcc_lo
	v_cmp_gt_i32_e32 vcc_lo, 32, v8
	ds_bpermute_b32 v7, v5, v2
	v_cndmask_b32_e32 v8, v3, v8, vcc_lo
	s_waitcnt lgkmcnt(1)
	v_add_co_u32 v1, vcc_lo, v1, v6
	s_delay_alu instid0(VALU_DEP_2) | instskip(SKIP_1) | instid1(VALU_DEP_3)
	v_lshlrev_b32_e32 v6, 2, v8
	v_add_co_ci_u32_e32 v12, vcc_lo, 0, v2, vcc_lo
	v_add_co_u32 v2, vcc_lo, v1, 0
	ds_bpermute_b32 v8, v6, v1
	s_waitcnt lgkmcnt(1)
	v_add_co_ci_u32_e32 v7, vcc_lo, v12, v7, vcc_lo
	ds_bpermute_b32 v1, v6, v7
	v_cmpx_eq_u32_e32 7, v11
	s_cbranch_execz .LBB20_37
; %bb.36:
	s_waitcnt lgkmcnt(1)
	v_add_co_u32 v2, vcc_lo, v2, v8
	v_add_co_ci_u32_e32 v8, vcc_lo, 0, v7, vcc_lo
	v_lshl_add_u32 v10, v10, 3, 0
	s_delay_alu instid0(VALU_DEP_3) | instskip(SKIP_1) | instid1(VALU_DEP_3)
	v_add_co_u32 v7, vcc_lo, v2, 0
	s_waitcnt lgkmcnt(0)
	v_add_co_ci_u32_e32 v8, vcc_lo, v8, v1, vcc_lo
	ds_store_b64 v10, v[7:8]
.LBB20_37:
	s_or_b32 exec_lo, exec_lo, s0
	s_delay_alu instid0(SALU_CYCLE_1)
	s_mov_b32 s0, exec_lo
	s_waitcnt lgkmcnt(0)
	v_mov_b32_e32 v1, 0
	v_mov_b32_e32 v2, 0
	s_barrier
	buffer_gl0_inv
	v_cmpx_gt_u32_e32 16, v0
	s_cbranch_execz .LBB20_39
; %bb.38:
	ds_load_b64 v[1:2], v9
.LBB20_39:
	s_or_b32 exec_lo, exec_lo, s0
	s_waitcnt lgkmcnt(0)
	v_xor_b32_e32 v2, 8, v3
	s_mov_b32 s0, exec_lo
	s_delay_alu instid0(VALU_DEP_1) | instskip(SKIP_1) | instid1(VALU_DEP_1)
	v_cmp_gt_i32_e32 vcc_lo, 32, v2
	v_cndmask_b32_e32 v2, v3, v2, vcc_lo
	v_lshlrev_b32_e32 v2, 2, v2
	ds_bpermute_b32 v2, v2, v1
	s_waitcnt lgkmcnt(0)
	v_add_nc_u32_e32 v1, v1, v2
	ds_bpermute_b32 v2, v4, v1
	s_waitcnt lgkmcnt(0)
	v_add_nc_u32_e32 v1, v1, v2
	;; [unrolled: 3-line block ×3, first 2 shown]
	ds_bpermute_b32 v2, v6, v1
	v_cmpx_eq_u32_e32 15, v0
	s_cbranch_execz .LBB20_41
; %bb.40:
	s_lshl_b64 s[0:1], s[22:23], 2
	s_waitcnt lgkmcnt(0)
	v_dual_mov_b32 v0, 0 :: v_dual_add_nc_u32 v1, v2, v1
	s_add_u32 s0, s20, s0
	s_addc_u32 s1, s21, s1
	global_store_b32 v0, v1, s[0:1]
.LBB20_41:
	s_nop 0
	s_sendmsg sendmsg(MSG_DEALLOC_VGPRS)
	s_endpgm
	.section	.rodata,"a",@progbits
	.p2align	6, 0x0
	.amdhsa_kernel _ZN9rocsparseL25csrgemm_nnz_block_per_rowILj128ELj8ELj512ELj79EilEEvPKT4_S3_PKT3_S3_S6_S3_S6_S3_PS4_21rocsparse_index_base_S8_S8_bb
		.amdhsa_group_segment_fixed_size 0
		.amdhsa_private_segment_fixed_size 0
		.amdhsa_kernarg_size 88
		.amdhsa_user_sgpr_count 15
		.amdhsa_user_sgpr_dispatch_ptr 0
		.amdhsa_user_sgpr_queue_ptr 0
		.amdhsa_user_sgpr_kernarg_segment_ptr 1
		.amdhsa_user_sgpr_dispatch_id 0
		.amdhsa_user_sgpr_private_segment_size 0
		.amdhsa_wavefront_size32 1
		.amdhsa_uses_dynamic_stack 0
		.amdhsa_enable_private_segment 0
		.amdhsa_system_sgpr_workgroup_id_x 1
		.amdhsa_system_sgpr_workgroup_id_y 0
		.amdhsa_system_sgpr_workgroup_id_z 0
		.amdhsa_system_sgpr_workgroup_info 0
		.amdhsa_system_vgpr_workitem_id 0
		.amdhsa_next_free_vgpr 16
		.amdhsa_next_free_sgpr 36
		.amdhsa_reserve_vcc 1
		.amdhsa_float_round_mode_32 0
		.amdhsa_float_round_mode_16_64 0
		.amdhsa_float_denorm_mode_32 3
		.amdhsa_float_denorm_mode_16_64 3
		.amdhsa_dx10_clamp 1
		.amdhsa_ieee_mode 1
		.amdhsa_fp16_overflow 0
		.amdhsa_workgroup_processor_mode 1
		.amdhsa_memory_ordered 1
		.amdhsa_forward_progress 0
		.amdhsa_shared_vgpr_count 0
		.amdhsa_exception_fp_ieee_invalid_op 0
		.amdhsa_exception_fp_denorm_src 0
		.amdhsa_exception_fp_ieee_div_zero 0
		.amdhsa_exception_fp_ieee_overflow 0
		.amdhsa_exception_fp_ieee_underflow 0
		.amdhsa_exception_fp_ieee_inexact 0
		.amdhsa_exception_int_div_zero 0
	.end_amdhsa_kernel
	.section	.text._ZN9rocsparseL25csrgemm_nnz_block_per_rowILj128ELj8ELj512ELj79EilEEvPKT4_S3_PKT3_S3_S6_S3_S6_S3_PS4_21rocsparse_index_base_S8_S8_bb,"axG",@progbits,_ZN9rocsparseL25csrgemm_nnz_block_per_rowILj128ELj8ELj512ELj79EilEEvPKT4_S3_PKT3_S3_S6_S3_S6_S3_PS4_21rocsparse_index_base_S8_S8_bb,comdat
.Lfunc_end20:
	.size	_ZN9rocsparseL25csrgemm_nnz_block_per_rowILj128ELj8ELj512ELj79EilEEvPKT4_S3_PKT3_S3_S6_S3_S6_S3_PS4_21rocsparse_index_base_S8_S8_bb, .Lfunc_end20-_ZN9rocsparseL25csrgemm_nnz_block_per_rowILj128ELj8ELj512ELj79EilEEvPKT4_S3_PKT3_S3_S6_S3_S6_S3_PS4_21rocsparse_index_base_S8_S8_bb
                                        ; -- End function
	.section	.AMDGPU.csdata,"",@progbits
; Kernel info:
; codeLenInByte = 1828
; NumSgprs: 38
; NumVgprs: 16
; ScratchSize: 0
; MemoryBound: 0
; FloatMode: 240
; IeeeMode: 1
; LDSByteSize: 0 bytes/workgroup (compile time only)
; SGPRBlocks: 4
; VGPRBlocks: 1
; NumSGPRsForWavesPerEU: 38
; NumVGPRsForWavesPerEU: 16
; Occupancy: 16
; WaveLimiterHint : 1
; COMPUTE_PGM_RSRC2:SCRATCH_EN: 0
; COMPUTE_PGM_RSRC2:USER_SGPR: 15
; COMPUTE_PGM_RSRC2:TRAP_HANDLER: 0
; COMPUTE_PGM_RSRC2:TGID_X_EN: 1
; COMPUTE_PGM_RSRC2:TGID_Y_EN: 0
; COMPUTE_PGM_RSRC2:TGID_Z_EN: 0
; COMPUTE_PGM_RSRC2:TIDIG_COMP_CNT: 0
	.section	.text._ZN9rocsparseL25csrgemm_nnz_block_per_rowILj128ELj8ELj1024ELj79EilEEvPKT4_S3_PKT3_S3_S6_S3_S6_S3_PS4_21rocsparse_index_base_S8_S8_bb,"axG",@progbits,_ZN9rocsparseL25csrgemm_nnz_block_per_rowILj128ELj8ELj1024ELj79EilEEvPKT4_S3_PKT3_S3_S6_S3_S6_S3_PS4_21rocsparse_index_base_S8_S8_bb,comdat
	.globl	_ZN9rocsparseL25csrgemm_nnz_block_per_rowILj128ELj8ELj1024ELj79EilEEvPKT4_S3_PKT3_S3_S6_S3_S6_S3_PS4_21rocsparse_index_base_S8_S8_bb ; -- Begin function _ZN9rocsparseL25csrgemm_nnz_block_per_rowILj128ELj8ELj1024ELj79EilEEvPKT4_S3_PKT3_S3_S6_S3_S6_S3_PS4_21rocsparse_index_base_S8_S8_bb
	.p2align	8
	.type	_ZN9rocsparseL25csrgemm_nnz_block_per_rowILj128ELj8ELj1024ELj79EilEEvPKT4_S3_PKT3_S3_S6_S3_S6_S3_PS4_21rocsparse_index_base_S8_S8_bb,@function
_ZN9rocsparseL25csrgemm_nnz_block_per_rowILj128ELj8ELj1024ELj79EilEEvPKT4_S3_PKT3_S3_S6_S3_S6_S3_PS4_21rocsparse_index_base_S8_S8_bb: ; @_ZN9rocsparseL25csrgemm_nnz_block_per_rowILj128ELj8ELj1024ELj79EilEEvPKT4_S3_PKT3_S3_S6_S3_S6_S3_PS4_21rocsparse_index_base_S8_S8_bb
; %bb.0:
	s_load_b128 s[4:7], s[0:1], 0x0
	s_mov_b32 s2, s15
	s_mov_b32 s3, 0
	v_mov_b32_e32 v1, -1
	v_lshl_add_u32 v9, v0, 3, 0
	s_delay_alu instid0(VALU_DEP_2)
	v_mov_b32_e32 v2, v1
	ds_store_b64 v9, v[1:2]
	s_waitcnt lgkmcnt(0)
	s_load_b64 s[4:5], s[4:5], 0x0
	s_waitcnt lgkmcnt(0)
	s_lshl_b64 s[4:5], s[4:5], 3
	s_delay_alu instid0(SALU_CYCLE_1) | instskip(SKIP_2) | instid1(SALU_CYCLE_1)
	s_add_u32 s4, s6, s4
	s_addc_u32 s5, s7, s5
	s_lshl_b64 s[2:3], s[2:3], 3
	s_add_u32 s2, s4, s2
	s_addc_u32 s3, s5, s3
	s_load_b64 s[12:13], s[2:3], 0x0
	s_mov_b32 s2, exec_lo
	v_cmpx_gt_u32_e32 0x380, v0
	s_cbranch_execz .LBB21_8
; %bb.1:
	ds_store_b64 v9, v[1:2] offset:1024
	s_mov_b32 s3, exec_lo
	v_cmpx_gt_u32_e32 0x300, v0
	s_xor_b32 s3, exec_lo, s3
	s_cbranch_execz .LBB21_8
; %bb.2:
	v_mov_b32_e32 v1, -1
	s_mov_b32 s3, exec_lo
	s_delay_alu instid0(VALU_DEP_1)
	v_mov_b32_e32 v2, v1
	ds_store_b64 v9, v[1:2] offset:2048
	v_cmpx_gt_u32_e32 0x280, v0
	s_xor_b32 s3, exec_lo, s3
	s_cbranch_execz .LBB21_8
; %bb.3:
	ds_store_b64 v9, v[1:2] offset:3072
	s_mov_b32 s3, exec_lo
	v_cmpx_gt_u32_e32 0x200, v0
	s_xor_b32 s3, exec_lo, s3
	s_cbranch_execz .LBB21_8
; %bb.4:
	v_mov_b32_e32 v1, -1
	s_mov_b32 s3, exec_lo
	s_delay_alu instid0(VALU_DEP_1)
	v_mov_b32_e32 v2, v1
	ds_store_b64 v9, v[1:2] offset:4096
	v_cmpx_gt_u32_e32 0x180, v0
	s_xor_b32 s3, exec_lo, s3
	;; [unrolled: 15-line block ×3, first 2 shown]
	s_cbranch_execz .LBB21_8
; %bb.7:
	ds_store_b64 v9, v[1:2] offset:7168
.LBB21_8:
	s_or_b32 exec_lo, exec_lo, s2
	s_load_b128 s[4:7], s[0:1], 0x48
	v_mov_b32_e32 v1, 0
	v_dual_mov_b32 v2, 0 :: v_dual_and_b32 v11, 7, v0
	v_lshrrev_b32_e32 v10, 3, v0
	s_waitcnt lgkmcnt(0)
	s_barrier
	buffer_gl0_inv
	s_bitcmp1_b32 s7, 0
	s_cselect_b32 s2, -1, 0
	s_delay_alu instid0(SALU_CYCLE_1)
	s_and_b32 vcc_lo, exec_lo, s2
	s_cbranch_vccz .LBB21_26
; %bb.9:
	s_load_b64 s[2:3], s[0:1], 0x10
	s_lshl_b64 s[8:9], s[12:13], 2
	v_subrev_nc_u32_e32 v1, s4, v10
	s_waitcnt lgkmcnt(0)
	s_add_u32 s2, s2, s8
	s_addc_u32 s3, s3, s9
	s_load_b64 s[2:3], s[2:3], 0x0
	s_waitcnt lgkmcnt(0)
	v_add_nc_u32_e32 v3, s2, v1
	v_mov_b32_e32 v1, 0
	v_mov_b32_e32 v2, 0
	s_sub_i32 s7, s3, s4
	s_mov_b32 s3, exec_lo
	v_cmpx_gt_i32_e64 s7, v3
	s_cbranch_execz .LBB21_25
; %bb.10:
	s_clause 0x1
	s_load_b128 s[8:11], s[0:1], 0x18
	s_load_b64 s[14:15], s[0:1], 0x28
	v_mov_b32_e32 v1, 0
	v_mov_b32_e32 v2, 0
	v_subrev_nc_u32_e32 v12, s5, v11
	s_mov_b32 s16, 0
	s_mov_b32 s17, s5
	s_branch .LBB21_13
.LBB21_11:                              ;   in Loop: Header=BB21_13 Depth=1
	s_or_b32 exec_lo, exec_lo, s19
.LBB21_12:                              ;   in Loop: Header=BB21_13 Depth=1
	s_delay_alu instid0(SALU_CYCLE_1) | instskip(SKIP_1) | instid1(VALU_DEP_1)
	s_or_b32 exec_lo, exec_lo, s18
	v_add_nc_u32_e32 v3, 16, v3
	v_cmp_le_i32_e32 vcc_lo, s7, v3
	s_or_b32 s16, vcc_lo, s16
	s_delay_alu instid0(SALU_CYCLE_1)
	s_and_not1_b32 exec_lo, exec_lo, s16
	s_cbranch_execz .LBB21_24
.LBB21_13:                              ; =>This Loop Header: Depth=1
                                        ;     Child Loop BB21_16 Depth 2
                                        ;       Child Loop BB21_19 Depth 3
	v_ashrrev_i32_e32 v4, 31, v3
	s_mov_b32 s18, exec_lo
	s_delay_alu instid0(VALU_DEP_1) | instskip(SKIP_1) | instid1(VALU_DEP_1)
	v_lshlrev_b64 v[4:5], 3, v[3:4]
	s_waitcnt lgkmcnt(0)
	v_add_co_u32 v4, vcc_lo, s8, v4
	s_delay_alu instid0(VALU_DEP_2) | instskip(SKIP_4) | instid1(VALU_DEP_1)
	v_add_co_ci_u32_e32 v5, vcc_lo, s9, v5, vcc_lo
	global_load_b64 v[4:5], v[4:5], off
	s_waitcnt vmcnt(0)
	v_sub_co_u32 v4, vcc_lo, v4, s4
	v_subrev_co_ci_u32_e32 v5, vcc_lo, 0, v5, vcc_lo
	v_lshlrev_b64 v[4:5], 2, v[4:5]
	s_delay_alu instid0(VALU_DEP_1) | instskip(NEXT) | instid1(VALU_DEP_2)
	v_add_co_u32 v4, vcc_lo, s10, v4
	v_add_co_ci_u32_e32 v5, vcc_lo, s11, v5, vcc_lo
	global_load_b64 v[4:5], v[4:5], off
	s_waitcnt vmcnt(0)
	v_subrev_nc_u32_e32 v13, s5, v5
	v_add_nc_u32_e32 v4, v12, v4
	s_delay_alu instid0(VALU_DEP_1)
	v_cmpx_lt_i32_e64 v4, v13
	s_cbranch_execz .LBB21_12
; %bb.14:                               ;   in Loop: Header=BB21_13 Depth=1
	s_mov_b32 s19, 0
	s_branch .LBB21_16
.LBB21_15:                              ;   in Loop: Header=BB21_16 Depth=2
	s_or_b32 exec_lo, exec_lo, s21
	v_add_nc_u32_e32 v4, 8, v4
	v_cndmask_b32_e64 v5, 0, 1, s20
	s_delay_alu instid0(VALU_DEP_2) | instskip(NEXT) | instid1(VALU_DEP_2)
	v_cmp_ge_i32_e32 vcc_lo, v4, v13
	v_add_co_u32 v1, s2, v1, v5
	s_delay_alu instid0(VALU_DEP_1) | instskip(SKIP_1) | instid1(SALU_CYCLE_1)
	v_add_co_ci_u32_e64 v2, s2, 0, v2, s2
	s_or_b32 s19, vcc_lo, s19
	s_and_not1_b32 exec_lo, exec_lo, s19
	s_cbranch_execz .LBB21_11
.LBB21_16:                              ;   Parent Loop BB21_13 Depth=1
                                        ; =>  This Loop Header: Depth=2
                                        ;       Child Loop BB21_19 Depth 3
	v_ashrrev_i32_e32 v5, 31, v4
	s_mov_b32 s21, 0
                                        ; implicit-def: $sgpr20
                                        ; implicit-def: $sgpr22
                                        ; implicit-def: $sgpr23
                                        ; implicit-def: $sgpr24
	s_delay_alu instid0(VALU_DEP_1) | instskip(NEXT) | instid1(VALU_DEP_1)
	v_lshlrev_b64 v[5:6], 3, v[4:5]
	v_add_co_u32 v5, vcc_lo, s14, v5
	s_delay_alu instid0(VALU_DEP_2) | instskip(SKIP_4) | instid1(VALU_DEP_2)
	v_add_co_ci_u32_e32 v6, vcc_lo, s15, v6, vcc_lo
	global_load_b64 v[5:6], v[5:6], off
	s_waitcnt vmcnt(0)
	v_sub_co_u32 v5, vcc_lo, v5, s17
	v_subrev_co_ci_u32_e32 v6, vcc_lo, 0, v6, vcc_lo
	v_mul_lo_u32 v7, 0x4f, v5
	s_delay_alu instid0(VALU_DEP_1)
	v_and_b32_e32 v14, 0x3ff, v7
	s_branch .LBB21_19
.LBB21_17:                              ;   in Loop: Header=BB21_19 Depth=3
	s_or_b32 exec_lo, exec_lo, s28
	s_delay_alu instid0(SALU_CYCLE_1)
	s_and_not1_b32 s2, s23, exec_lo
	s_and_b32 s23, s27, exec_lo
	s_and_not1_b32 s22, s22, exec_lo
	s_and_b32 s24, s26, exec_lo
	s_or_b32 s23, s2, s23
	s_or_b32 s22, s22, s24
                                        ; implicit-def: $sgpr24
.LBB21_18:                              ;   in Loop: Header=BB21_19 Depth=3
	s_or_b32 exec_lo, exec_lo, s25
	s_xor_b32 s2, s22, -1
	s_delay_alu instid0(SALU_CYCLE_1) | instskip(NEXT) | instid1(SALU_CYCLE_1)
	s_and_b32 s2, exec_lo, s2
	s_or_b32 s21, s2, s21
	s_and_not1_b32 s2, s24, exec_lo
	s_and_b32 s25, s23, exec_lo
	s_and_not1_b32 s20, s20, exec_lo
	s_or_b32 s24, s2, s25
	s_or_b32 s20, s20, s25
	s_and_not1_b32 exec_lo, exec_lo, s21
	s_cbranch_execz .LBB21_15
.LBB21_19:                              ;   Parent Loop BB21_13 Depth=1
                                        ;     Parent Loop BB21_16 Depth=2
                                        ; =>    This Inner Loop Header: Depth=3
	s_delay_alu instid0(VALU_DEP_1)
	v_lshl_add_u32 v15, v14, 3, 0
	s_and_not1_b32 s23, s23, exec_lo
	s_and_not1_b32 s22, s22, exec_lo
	s_mov_b32 s25, exec_lo
	ds_load_b64 v[7:8], v15
	s_waitcnt lgkmcnt(0)
	v_cmpx_ne_u64_e64 v[7:8], v[5:6]
	s_cbranch_execz .LBB21_18
; %bb.20:                               ;   in Loop: Header=BB21_19 Depth=3
	s_mov_b32 s2, exec_lo
                                        ; implicit-def: $sgpr27
                                        ; implicit-def: $sgpr26
	v_cmpx_ne_u64_e32 -1, v[7:8]
	s_xor_b32 s2, exec_lo, s2
; %bb.21:                               ;   in Loop: Header=BB21_19 Depth=3
	v_add_nc_u32_e32 v7, 1, v14
	s_mov_b32 s26, -1
	s_and_b32 s27, s24, exec_lo
                                        ; implicit-def: $vgpr15
	s_delay_alu instid0(VALU_DEP_1)
	v_and_b32_e32 v14, 0x3ff, v7
; %bb.22:                               ;   in Loop: Header=BB21_19 Depth=3
	s_and_not1_saveexec_b32 s28, s2
	s_cbranch_execz .LBB21_17
; %bb.23:                               ;   in Loop: Header=BB21_19 Depth=3
	v_mov_b32_e32 v7, -1
	v_mov_b32_e32 v8, -1
	s_and_not1_b32 s26, s26, exec_lo
	s_and_not1_b32 s27, s27, exec_lo
	ds_cmpstore_rtn_b64 v[7:8], v15, v[5:6], v[7:8]
	s_waitcnt lgkmcnt(0)
	v_cmp_eq_u64_e32 vcc_lo, -1, v[7:8]
	v_cmp_ne_u64_e64 s2, -1, v[7:8]
	s_or_b32 s24, vcc_lo, s24
	s_delay_alu instid0(VALU_DEP_1)
	s_and_b32 s2, s2, exec_lo
	s_and_b32 s24, s24, exec_lo
	s_or_b32 s26, s26, s2
	s_or_b32 s27, s27, s24
	s_branch .LBB21_17
.LBB21_24:
	s_or_b32 exec_lo, exec_lo, s16
.LBB21_25:
	s_delay_alu instid0(SALU_CYCLE_1)
	s_or_b32 exec_lo, exec_lo, s3
.LBB21_26:
	s_load_b32 s2, s[0:1], 0x54
	s_waitcnt lgkmcnt(0)
	s_bfe_u32 s2, s2, 0x10008
	s_delay_alu instid0(SALU_CYCLE_1)
	s_cmp_eq_u32 s2, 0
	s_cbranch_scc1 .LBB21_40
; %bb.27:
	s_load_b64 s[2:3], s[0:1], 0x30
	s_lshl_b64 s[4:5], s[12:13], 2
	v_subrev_nc_u32_e32 v3, s6, v10
	s_waitcnt lgkmcnt(0)
	s_add_u32 s2, s2, s4
	s_addc_u32 s3, s3, s5
	s_load_b64 s[2:3], s[2:3], 0x0
	s_waitcnt lgkmcnt(0)
	v_add_nc_u32_e32 v3, s2, v3
	s_sub_i32 s7, s3, s6
	s_mov_b32 s3, exec_lo
	s_delay_alu instid0(VALU_DEP_1)
	v_cmpx_gt_i32_e64 s7, v3
	s_cbranch_execz .LBB21_39
; %bb.28:
	s_load_b64 s[4:5], s[0:1], 0x38
	s_mov_b32 s8, 0
	s_branch .LBB21_30
.LBB21_29:                              ;   in Loop: Header=BB21_30 Depth=1
	s_or_b32 exec_lo, exec_lo, s10
	v_add_nc_u32_e32 v3, 16, v3
	v_cndmask_b32_e64 v4, 0, 1, s9
	s_delay_alu instid0(VALU_DEP_2) | instskip(NEXT) | instid1(VALU_DEP_2)
	v_cmp_le_i32_e32 vcc_lo, s7, v3
	v_add_co_u32 v1, s2, v1, v4
	s_delay_alu instid0(VALU_DEP_1) | instskip(SKIP_1) | instid1(SALU_CYCLE_1)
	v_add_co_ci_u32_e64 v2, s2, 0, v2, s2
	s_or_b32 s8, vcc_lo, s8
	s_and_not1_b32 exec_lo, exec_lo, s8
	s_cbranch_execz .LBB21_38
.LBB21_30:                              ; =>This Loop Header: Depth=1
                                        ;     Child Loop BB21_33 Depth 2
	v_ashrrev_i32_e32 v4, 31, v3
	s_mov_b32 s10, 0
                                        ; implicit-def: $sgpr9
                                        ; implicit-def: $sgpr11
                                        ; implicit-def: $sgpr14
                                        ; implicit-def: $sgpr15
	s_delay_alu instid0(VALU_DEP_1) | instskip(SKIP_1) | instid1(VALU_DEP_1)
	v_lshlrev_b64 v[4:5], 3, v[3:4]
	s_waitcnt lgkmcnt(0)
	v_add_co_u32 v4, vcc_lo, s4, v4
	s_delay_alu instid0(VALU_DEP_2) | instskip(SKIP_4) | instid1(VALU_DEP_2)
	v_add_co_ci_u32_e32 v5, vcc_lo, s5, v5, vcc_lo
	global_load_b64 v[4:5], v[4:5], off
	s_waitcnt vmcnt(0)
	v_sub_co_u32 v4, vcc_lo, v4, s6
	v_subrev_co_ci_u32_e32 v5, vcc_lo, 0, v5, vcc_lo
	v_mul_lo_u32 v6, 0x4f, v4
	s_delay_alu instid0(VALU_DEP_1)
	v_and_b32_e32 v8, 0x3ff, v6
	s_branch .LBB21_33
.LBB21_31:                              ;   in Loop: Header=BB21_33 Depth=2
	s_or_b32 exec_lo, exec_lo, s19
	s_delay_alu instid0(SALU_CYCLE_1)
	s_and_not1_b32 s2, s14, exec_lo
	s_and_b32 s14, s18, exec_lo
	s_and_not1_b32 s11, s11, exec_lo
	s_and_b32 s15, s17, exec_lo
	s_or_b32 s14, s2, s14
	s_or_b32 s11, s11, s15
                                        ; implicit-def: $sgpr15
.LBB21_32:                              ;   in Loop: Header=BB21_33 Depth=2
	s_or_b32 exec_lo, exec_lo, s16
	s_xor_b32 s2, s11, -1
	s_delay_alu instid0(SALU_CYCLE_1) | instskip(NEXT) | instid1(SALU_CYCLE_1)
	s_and_b32 s2, exec_lo, s2
	s_or_b32 s10, s2, s10
	s_and_not1_b32 s2, s15, exec_lo
	s_and_b32 s16, s14, exec_lo
	s_and_not1_b32 s9, s9, exec_lo
	s_or_b32 s15, s2, s16
	s_or_b32 s9, s9, s16
	s_and_not1_b32 exec_lo, exec_lo, s10
	s_cbranch_execz .LBB21_29
.LBB21_33:                              ;   Parent Loop BB21_30 Depth=1
                                        ; =>  This Inner Loop Header: Depth=2
	s_delay_alu instid0(VALU_DEP_1)
	v_lshl_add_u32 v12, v8, 3, 0
	s_and_not1_b32 s14, s14, exec_lo
	s_and_not1_b32 s11, s11, exec_lo
	s_mov_b32 s16, exec_lo
	ds_load_b64 v[6:7], v12
	s_waitcnt lgkmcnt(0)
	v_cmpx_ne_u64_e64 v[6:7], v[4:5]
	s_cbranch_execz .LBB21_32
; %bb.34:                               ;   in Loop: Header=BB21_33 Depth=2
	s_mov_b32 s2, exec_lo
                                        ; implicit-def: $sgpr18
                                        ; implicit-def: $sgpr17
	v_cmpx_ne_u64_e32 -1, v[6:7]
	s_xor_b32 s2, exec_lo, s2
; %bb.35:                               ;   in Loop: Header=BB21_33 Depth=2
	v_add_nc_u32_e32 v6, 1, v8
	s_mov_b32 s17, -1
	s_and_b32 s18, s15, exec_lo
                                        ; implicit-def: $vgpr12
	s_delay_alu instid0(VALU_DEP_1)
	v_and_b32_e32 v8, 0x3ff, v6
; %bb.36:                               ;   in Loop: Header=BB21_33 Depth=2
	s_and_not1_saveexec_b32 s19, s2
	s_cbranch_execz .LBB21_31
; %bb.37:                               ;   in Loop: Header=BB21_33 Depth=2
	v_mov_b32_e32 v6, -1
	v_mov_b32_e32 v7, -1
	s_and_not1_b32 s17, s17, exec_lo
	s_and_not1_b32 s18, s18, exec_lo
	ds_cmpstore_rtn_b64 v[6:7], v12, v[4:5], v[6:7]
	s_waitcnt lgkmcnt(0)
	v_cmp_eq_u64_e32 vcc_lo, -1, v[6:7]
	v_cmp_ne_u64_e64 s2, -1, v[6:7]
	s_or_b32 s15, vcc_lo, s15
	s_delay_alu instid0(VALU_DEP_1)
	s_and_b32 s2, s2, exec_lo
	s_and_b32 s15, s15, exec_lo
	s_or_b32 s17, s17, s2
	s_or_b32 s18, s18, s15
	s_branch .LBB21_31
.LBB21_38:
	s_or_b32 exec_lo, exec_lo, s8
.LBB21_39:
	s_delay_alu instid0(SALU_CYCLE_1)
	s_or_b32 exec_lo, exec_lo, s3
.LBB21_40:
	v_mbcnt_lo_u32_b32 v3, -1, 0
	s_mov_b32 s2, exec_lo
	s_barrier
	buffer_gl0_inv
	v_xor_b32_e32 v4, 4, v3
	v_xor_b32_e32 v5, 2, v3
	;; [unrolled: 1-line block ×3, first 2 shown]
	s_delay_alu instid0(VALU_DEP_3) | instskip(SKIP_1) | instid1(VALU_DEP_4)
	v_cmp_gt_i32_e32 vcc_lo, 32, v4
	v_cndmask_b32_e32 v4, v3, v4, vcc_lo
	v_cmp_gt_i32_e32 vcc_lo, 32, v5
	v_cndmask_b32_e32 v5, v3, v5, vcc_lo
	s_delay_alu instid0(VALU_DEP_1) | instskip(NEXT) | instid1(VALU_DEP_4)
	v_lshlrev_b32_e32 v5, 2, v5
	v_lshlrev_b32_e32 v4, 2, v4
	ds_bpermute_b32 v6, v4, v1
	ds_bpermute_b32 v7, v4, v2
	s_waitcnt lgkmcnt(1)
	v_add_co_u32 v1, vcc_lo, v1, v6
	v_add_co_ci_u32_e32 v2, vcc_lo, 0, v2, vcc_lo
	ds_bpermute_b32 v6, v5, v1
	v_add_co_u32 v1, vcc_lo, 0, v1
	s_waitcnt lgkmcnt(1)
	v_add_co_ci_u32_e32 v2, vcc_lo, v7, v2, vcc_lo
	v_cmp_gt_i32_e32 vcc_lo, 32, v8
	ds_bpermute_b32 v7, v5, v2
	v_cndmask_b32_e32 v8, v3, v8, vcc_lo
	s_waitcnt lgkmcnt(1)
	v_add_co_u32 v1, vcc_lo, v1, v6
	s_delay_alu instid0(VALU_DEP_2) | instskip(SKIP_1) | instid1(VALU_DEP_3)
	v_lshlrev_b32_e32 v6, 2, v8
	v_add_co_ci_u32_e32 v12, vcc_lo, 0, v2, vcc_lo
	v_add_co_u32 v2, vcc_lo, v1, 0
	ds_bpermute_b32 v8, v6, v1
	s_waitcnt lgkmcnt(1)
	v_add_co_ci_u32_e32 v7, vcc_lo, v12, v7, vcc_lo
	ds_bpermute_b32 v1, v6, v7
	v_cmpx_eq_u32_e32 7, v11
	s_cbranch_execz .LBB21_42
; %bb.41:
	s_waitcnt lgkmcnt(1)
	v_add_co_u32 v2, vcc_lo, v2, v8
	v_add_co_ci_u32_e32 v8, vcc_lo, 0, v7, vcc_lo
	v_lshl_add_u32 v10, v10, 3, 0
	s_delay_alu instid0(VALU_DEP_3) | instskip(SKIP_1) | instid1(VALU_DEP_3)
	v_add_co_u32 v7, vcc_lo, v2, 0
	s_waitcnt lgkmcnt(0)
	v_add_co_ci_u32_e32 v8, vcc_lo, v8, v1, vcc_lo
	ds_store_b64 v10, v[7:8]
.LBB21_42:
	s_or_b32 exec_lo, exec_lo, s2
	s_delay_alu instid0(SALU_CYCLE_1)
	s_mov_b32 s2, exec_lo
	s_waitcnt lgkmcnt(0)
	v_mov_b32_e32 v1, 0
	v_mov_b32_e32 v2, 0
	s_barrier
	buffer_gl0_inv
	v_cmpx_gt_u32_e32 16, v0
	s_cbranch_execz .LBB21_44
; %bb.43:
	ds_load_b64 v[1:2], v9
.LBB21_44:
	s_or_b32 exec_lo, exec_lo, s2
	s_waitcnt lgkmcnt(0)
	v_xor_b32_e32 v2, 8, v3
	s_mov_b32 s2, exec_lo
	s_delay_alu instid0(VALU_DEP_1) | instskip(SKIP_1) | instid1(VALU_DEP_1)
	v_cmp_gt_i32_e32 vcc_lo, 32, v2
	v_cndmask_b32_e32 v2, v3, v2, vcc_lo
	v_lshlrev_b32_e32 v2, 2, v2
	ds_bpermute_b32 v2, v2, v1
	s_waitcnt lgkmcnt(0)
	v_add_nc_u32_e32 v1, v1, v2
	ds_bpermute_b32 v2, v4, v1
	s_waitcnt lgkmcnt(0)
	v_add_nc_u32_e32 v1, v1, v2
	;; [unrolled: 3-line block ×3, first 2 shown]
	ds_bpermute_b32 v2, v6, v1
	v_cmpx_eq_u32_e32 15, v0
	s_cbranch_execz .LBB21_46
; %bb.45:
	s_load_b64 s[0:1], s[0:1], 0x40
	s_lshl_b64 s[2:3], s[12:13], 2
	s_waitcnt lgkmcnt(0)
	v_dual_mov_b32 v0, 0 :: v_dual_add_nc_u32 v1, v2, v1
	s_add_u32 s0, s0, s2
	s_addc_u32 s1, s1, s3
	global_store_b32 v0, v1, s[0:1]
.LBB21_46:
	s_nop 0
	s_sendmsg sendmsg(MSG_DEALLOC_VGPRS)
	s_endpgm
	.section	.rodata,"a",@progbits
	.p2align	6, 0x0
	.amdhsa_kernel _ZN9rocsparseL25csrgemm_nnz_block_per_rowILj128ELj8ELj1024ELj79EilEEvPKT4_S3_PKT3_S3_S6_S3_S6_S3_PS4_21rocsparse_index_base_S8_S8_bb
		.amdhsa_group_segment_fixed_size 0
		.amdhsa_private_segment_fixed_size 0
		.amdhsa_kernarg_size 88
		.amdhsa_user_sgpr_count 15
		.amdhsa_user_sgpr_dispatch_ptr 0
		.amdhsa_user_sgpr_queue_ptr 0
		.amdhsa_user_sgpr_kernarg_segment_ptr 1
		.amdhsa_user_sgpr_dispatch_id 0
		.amdhsa_user_sgpr_private_segment_size 0
		.amdhsa_wavefront_size32 1
		.amdhsa_uses_dynamic_stack 0
		.amdhsa_enable_private_segment 0
		.amdhsa_system_sgpr_workgroup_id_x 1
		.amdhsa_system_sgpr_workgroup_id_y 0
		.amdhsa_system_sgpr_workgroup_id_z 0
		.amdhsa_system_sgpr_workgroup_info 0
		.amdhsa_system_vgpr_workitem_id 0
		.amdhsa_next_free_vgpr 16
		.amdhsa_next_free_sgpr 29
		.amdhsa_reserve_vcc 1
		.amdhsa_float_round_mode_32 0
		.amdhsa_float_round_mode_16_64 0
		.amdhsa_float_denorm_mode_32 3
		.amdhsa_float_denorm_mode_16_64 3
		.amdhsa_dx10_clamp 1
		.amdhsa_ieee_mode 1
		.amdhsa_fp16_overflow 0
		.amdhsa_workgroup_processor_mode 1
		.amdhsa_memory_ordered 1
		.amdhsa_forward_progress 0
		.amdhsa_shared_vgpr_count 0
		.amdhsa_exception_fp_ieee_invalid_op 0
		.amdhsa_exception_fp_denorm_src 0
		.amdhsa_exception_fp_ieee_div_zero 0
		.amdhsa_exception_fp_ieee_overflow 0
		.amdhsa_exception_fp_ieee_underflow 0
		.amdhsa_exception_fp_ieee_inexact 0
		.amdhsa_exception_int_div_zero 0
	.end_amdhsa_kernel
	.section	.text._ZN9rocsparseL25csrgemm_nnz_block_per_rowILj128ELj8ELj1024ELj79EilEEvPKT4_S3_PKT3_S3_S6_S3_S6_S3_PS4_21rocsparse_index_base_S8_S8_bb,"axG",@progbits,_ZN9rocsparseL25csrgemm_nnz_block_per_rowILj128ELj8ELj1024ELj79EilEEvPKT4_S3_PKT3_S3_S6_S3_S6_S3_PS4_21rocsparse_index_base_S8_S8_bb,comdat
.Lfunc_end21:
	.size	_ZN9rocsparseL25csrgemm_nnz_block_per_rowILj128ELj8ELj1024ELj79EilEEvPKT4_S3_PKT3_S3_S6_S3_S6_S3_PS4_21rocsparse_index_base_S8_S8_bb, .Lfunc_end21-_ZN9rocsparseL25csrgemm_nnz_block_per_rowILj128ELj8ELj1024ELj79EilEEvPKT4_S3_PKT3_S3_S6_S3_S6_S3_PS4_21rocsparse_index_base_S8_S8_bb
                                        ; -- End function
	.section	.AMDGPU.csdata,"",@progbits
; Kernel info:
; codeLenInByte = 2040
; NumSgprs: 31
; NumVgprs: 16
; ScratchSize: 0
; MemoryBound: 0
; FloatMode: 240
; IeeeMode: 1
; LDSByteSize: 0 bytes/workgroup (compile time only)
; SGPRBlocks: 3
; VGPRBlocks: 1
; NumSGPRsForWavesPerEU: 31
; NumVGPRsForWavesPerEU: 16
; Occupancy: 16
; WaveLimiterHint : 1
; COMPUTE_PGM_RSRC2:SCRATCH_EN: 0
; COMPUTE_PGM_RSRC2:USER_SGPR: 15
; COMPUTE_PGM_RSRC2:TRAP_HANDLER: 0
; COMPUTE_PGM_RSRC2:TGID_X_EN: 1
; COMPUTE_PGM_RSRC2:TGID_Y_EN: 0
; COMPUTE_PGM_RSRC2:TGID_Z_EN: 0
; COMPUTE_PGM_RSRC2:TIDIG_COMP_CNT: 0
	.section	.text._ZN9rocsparseL25csrgemm_nnz_block_per_rowILj256ELj16ELj2048ELj79EilEEvPKT4_S3_PKT3_S3_S6_S3_S6_S3_PS4_21rocsparse_index_base_S8_S8_bb,"axG",@progbits,_ZN9rocsparseL25csrgemm_nnz_block_per_rowILj256ELj16ELj2048ELj79EilEEvPKT4_S3_PKT3_S3_S6_S3_S6_S3_PS4_21rocsparse_index_base_S8_S8_bb,comdat
	.globl	_ZN9rocsparseL25csrgemm_nnz_block_per_rowILj256ELj16ELj2048ELj79EilEEvPKT4_S3_PKT3_S3_S6_S3_S6_S3_PS4_21rocsparse_index_base_S8_S8_bb ; -- Begin function _ZN9rocsparseL25csrgemm_nnz_block_per_rowILj256ELj16ELj2048ELj79EilEEvPKT4_S3_PKT3_S3_S6_S3_S6_S3_PS4_21rocsparse_index_base_S8_S8_bb
	.p2align	8
	.type	_ZN9rocsparseL25csrgemm_nnz_block_per_rowILj256ELj16ELj2048ELj79EilEEvPKT4_S3_PKT3_S3_S6_S3_S6_S3_PS4_21rocsparse_index_base_S8_S8_bb,@function
_ZN9rocsparseL25csrgemm_nnz_block_per_rowILj256ELj16ELj2048ELj79EilEEvPKT4_S3_PKT3_S3_S6_S3_S6_S3_PS4_21rocsparse_index_base_S8_S8_bb: ; @_ZN9rocsparseL25csrgemm_nnz_block_per_rowILj256ELj16ELj2048ELj79EilEEvPKT4_S3_PKT3_S3_S6_S3_S6_S3_PS4_21rocsparse_index_base_S8_S8_bb
; %bb.0:
	s_load_b128 s[4:7], s[0:1], 0x0
	s_mov_b32 s2, s15
	s_mov_b32 s3, 0
	v_or_b32_e32 v3, 0x400, v0
	v_lshl_add_u32 v9, v0, 3, 0
	s_waitcnt lgkmcnt(0)
	s_load_b64 s[4:5], s[4:5], 0x0
	s_waitcnt lgkmcnt(0)
	s_lshl_b64 s[4:5], s[4:5], 3
	s_delay_alu instid0(SALU_CYCLE_1) | instskip(SKIP_2) | instid1(SALU_CYCLE_1)
	s_add_u32 s4, s6, s4
	s_addc_u32 s5, s7, s5
	s_lshl_b64 s[2:3], s[2:3], 3
	s_add_u32 s2, s4, s2
	s_addc_u32 s3, s5, s3
	s_load_b64 s[12:13], s[2:3], 0x0
	s_mov_b32 s2, -1
	s_delay_alu instid0(SALU_CYCLE_1) | instskip(NEXT) | instid1(SALU_CYCLE_1)
	s_mov_b32 s3, s2
	v_dual_mov_b32 v1, s2 :: v_dual_mov_b32 v2, s3
	s_mov_b32 s2, exec_lo
	ds_store_2addr_stride64_b64 v9, v[1:2], v[1:2] offset1:4
	ds_store_2addr_stride64_b64 v9, v[1:2], v[1:2] offset0:8 offset1:12
	ds_store_b64 v9, v[1:2] offset:8192
	v_cmpx_gt_u32_e32 0x700, v3
	s_cbranch_execz .LBB22_4
; %bb.1:
	v_mov_b32_e32 v1, -1
	s_mov_b32 s3, exec_lo
	s_delay_alu instid0(VALU_DEP_1)
	v_mov_b32_e32 v2, v1
	ds_store_b64 v9, v[1:2] offset:10240
	v_cmpx_gt_u32_e32 0x200, v0
	s_xor_b32 s3, exec_lo, s3
	s_cbranch_execz .LBB22_4
; %bb.2:
	ds_store_b64 v9, v[1:2] offset:12288
	s_mov_b32 s3, exec_lo
	v_cmpx_gt_u32_e32 0x100, v0
	s_xor_b32 s3, exec_lo, s3
	s_cbranch_execz .LBB22_4
; %bb.3:
	v_mov_b32_e32 v1, -1
	s_delay_alu instid0(VALU_DEP_1)
	v_mov_b32_e32 v2, v1
	ds_store_b64 v9, v[1:2] offset:14336
.LBB22_4:
	s_or_b32 exec_lo, exec_lo, s2
	s_load_b128 s[4:7], s[0:1], 0x48
	v_mov_b32_e32 v1, 0
	v_dual_mov_b32 v2, 0 :: v_dual_and_b32 v11, 15, v0
	v_lshrrev_b32_e32 v10, 4, v0
	s_waitcnt lgkmcnt(0)
	s_barrier
	buffer_gl0_inv
	s_bitcmp1_b32 s7, 0
	s_cselect_b32 s2, -1, 0
	s_delay_alu instid0(SALU_CYCLE_1)
	s_and_b32 vcc_lo, exec_lo, s2
	s_cbranch_vccz .LBB22_22
; %bb.5:
	s_load_b64 s[2:3], s[0:1], 0x10
	s_lshl_b64 s[8:9], s[12:13], 2
	v_subrev_nc_u32_e32 v1, s4, v10
	s_waitcnt lgkmcnt(0)
	s_add_u32 s2, s2, s8
	s_addc_u32 s3, s3, s9
	s_load_b64 s[2:3], s[2:3], 0x0
	s_waitcnt lgkmcnt(0)
	v_add_nc_u32_e32 v3, s2, v1
	v_mov_b32_e32 v1, 0
	v_mov_b32_e32 v2, 0
	s_sub_i32 s7, s3, s4
	s_mov_b32 s3, exec_lo
	v_cmpx_gt_i32_e64 s7, v3
	s_cbranch_execz .LBB22_21
; %bb.6:
	s_clause 0x1
	s_load_b128 s[8:11], s[0:1], 0x18
	s_load_b64 s[14:15], s[0:1], 0x28
	v_mov_b32_e32 v1, 0
	v_mov_b32_e32 v2, 0
	v_subrev_nc_u32_e32 v12, s5, v11
	s_mov_b32 s16, 0
	s_mov_b32 s17, s5
	s_branch .LBB22_9
.LBB22_7:                               ;   in Loop: Header=BB22_9 Depth=1
	s_or_b32 exec_lo, exec_lo, s19
.LBB22_8:                               ;   in Loop: Header=BB22_9 Depth=1
	s_delay_alu instid0(SALU_CYCLE_1) | instskip(SKIP_1) | instid1(VALU_DEP_1)
	s_or_b32 exec_lo, exec_lo, s18
	v_add_nc_u32_e32 v3, 16, v3
	v_cmp_le_i32_e32 vcc_lo, s7, v3
	s_or_b32 s16, vcc_lo, s16
	s_delay_alu instid0(SALU_CYCLE_1)
	s_and_not1_b32 exec_lo, exec_lo, s16
	s_cbranch_execz .LBB22_20
.LBB22_9:                               ; =>This Loop Header: Depth=1
                                        ;     Child Loop BB22_12 Depth 2
                                        ;       Child Loop BB22_15 Depth 3
	v_ashrrev_i32_e32 v4, 31, v3
	s_mov_b32 s18, exec_lo
	s_delay_alu instid0(VALU_DEP_1) | instskip(SKIP_1) | instid1(VALU_DEP_1)
	v_lshlrev_b64 v[4:5], 3, v[3:4]
	s_waitcnt lgkmcnt(0)
	v_add_co_u32 v4, vcc_lo, s8, v4
	s_delay_alu instid0(VALU_DEP_2) | instskip(SKIP_4) | instid1(VALU_DEP_1)
	v_add_co_ci_u32_e32 v5, vcc_lo, s9, v5, vcc_lo
	global_load_b64 v[4:5], v[4:5], off
	s_waitcnt vmcnt(0)
	v_sub_co_u32 v4, vcc_lo, v4, s4
	v_subrev_co_ci_u32_e32 v5, vcc_lo, 0, v5, vcc_lo
	v_lshlrev_b64 v[4:5], 2, v[4:5]
	s_delay_alu instid0(VALU_DEP_1) | instskip(NEXT) | instid1(VALU_DEP_2)
	v_add_co_u32 v4, vcc_lo, s10, v4
	v_add_co_ci_u32_e32 v5, vcc_lo, s11, v5, vcc_lo
	global_load_b64 v[4:5], v[4:5], off
	s_waitcnt vmcnt(0)
	v_subrev_nc_u32_e32 v13, s5, v5
	v_add_nc_u32_e32 v4, v12, v4
	s_delay_alu instid0(VALU_DEP_1)
	v_cmpx_lt_i32_e64 v4, v13
	s_cbranch_execz .LBB22_8
; %bb.10:                               ;   in Loop: Header=BB22_9 Depth=1
	s_mov_b32 s19, 0
	s_branch .LBB22_12
.LBB22_11:                              ;   in Loop: Header=BB22_12 Depth=2
	s_or_b32 exec_lo, exec_lo, s21
	v_add_nc_u32_e32 v4, 16, v4
	v_cndmask_b32_e64 v5, 0, 1, s20
	s_delay_alu instid0(VALU_DEP_2) | instskip(NEXT) | instid1(VALU_DEP_2)
	v_cmp_ge_i32_e32 vcc_lo, v4, v13
	v_add_co_u32 v1, s2, v1, v5
	s_delay_alu instid0(VALU_DEP_1) | instskip(SKIP_1) | instid1(SALU_CYCLE_1)
	v_add_co_ci_u32_e64 v2, s2, 0, v2, s2
	s_or_b32 s19, vcc_lo, s19
	s_and_not1_b32 exec_lo, exec_lo, s19
	s_cbranch_execz .LBB22_7
.LBB22_12:                              ;   Parent Loop BB22_9 Depth=1
                                        ; =>  This Loop Header: Depth=2
                                        ;       Child Loop BB22_15 Depth 3
	v_ashrrev_i32_e32 v5, 31, v4
	s_mov_b32 s21, 0
                                        ; implicit-def: $sgpr20
                                        ; implicit-def: $sgpr22
                                        ; implicit-def: $sgpr23
                                        ; implicit-def: $sgpr24
	s_delay_alu instid0(VALU_DEP_1) | instskip(NEXT) | instid1(VALU_DEP_1)
	v_lshlrev_b64 v[5:6], 3, v[4:5]
	v_add_co_u32 v5, vcc_lo, s14, v5
	s_delay_alu instid0(VALU_DEP_2) | instskip(SKIP_4) | instid1(VALU_DEP_2)
	v_add_co_ci_u32_e32 v6, vcc_lo, s15, v6, vcc_lo
	global_load_b64 v[5:6], v[5:6], off
	s_waitcnt vmcnt(0)
	v_sub_co_u32 v5, vcc_lo, v5, s17
	v_subrev_co_ci_u32_e32 v6, vcc_lo, 0, v6, vcc_lo
	v_mul_lo_u32 v7, 0x4f, v5
	s_delay_alu instid0(VALU_DEP_1)
	v_and_b32_e32 v14, 0x7ff, v7
	s_branch .LBB22_15
.LBB22_13:                              ;   in Loop: Header=BB22_15 Depth=3
	s_or_b32 exec_lo, exec_lo, s28
	s_delay_alu instid0(SALU_CYCLE_1)
	s_and_not1_b32 s2, s23, exec_lo
	s_and_b32 s23, s27, exec_lo
	s_and_not1_b32 s22, s22, exec_lo
	s_and_b32 s24, s26, exec_lo
	s_or_b32 s23, s2, s23
	s_or_b32 s22, s22, s24
                                        ; implicit-def: $sgpr24
.LBB22_14:                              ;   in Loop: Header=BB22_15 Depth=3
	s_or_b32 exec_lo, exec_lo, s25
	s_xor_b32 s2, s22, -1
	s_delay_alu instid0(SALU_CYCLE_1) | instskip(NEXT) | instid1(SALU_CYCLE_1)
	s_and_b32 s2, exec_lo, s2
	s_or_b32 s21, s2, s21
	s_and_not1_b32 s2, s24, exec_lo
	s_and_b32 s25, s23, exec_lo
	s_and_not1_b32 s20, s20, exec_lo
	s_or_b32 s24, s2, s25
	s_or_b32 s20, s20, s25
	s_and_not1_b32 exec_lo, exec_lo, s21
	s_cbranch_execz .LBB22_11
.LBB22_15:                              ;   Parent Loop BB22_9 Depth=1
                                        ;     Parent Loop BB22_12 Depth=2
                                        ; =>    This Inner Loop Header: Depth=3
	s_delay_alu instid0(VALU_DEP_1)
	v_lshl_add_u32 v15, v14, 3, 0
	s_and_not1_b32 s23, s23, exec_lo
	s_and_not1_b32 s22, s22, exec_lo
	s_mov_b32 s25, exec_lo
	ds_load_b64 v[7:8], v15
	s_waitcnt lgkmcnt(0)
	v_cmpx_ne_u64_e64 v[7:8], v[5:6]
	s_cbranch_execz .LBB22_14
; %bb.16:                               ;   in Loop: Header=BB22_15 Depth=3
	s_mov_b32 s2, exec_lo
                                        ; implicit-def: $sgpr27
                                        ; implicit-def: $sgpr26
	v_cmpx_ne_u64_e32 -1, v[7:8]
	s_xor_b32 s2, exec_lo, s2
; %bb.17:                               ;   in Loop: Header=BB22_15 Depth=3
	v_add_nc_u32_e32 v7, 1, v14
	s_mov_b32 s26, -1
	s_and_b32 s27, s24, exec_lo
                                        ; implicit-def: $vgpr15
	s_delay_alu instid0(VALU_DEP_1)
	v_and_b32_e32 v14, 0x7ff, v7
; %bb.18:                               ;   in Loop: Header=BB22_15 Depth=3
	s_and_not1_saveexec_b32 s28, s2
	s_cbranch_execz .LBB22_13
; %bb.19:                               ;   in Loop: Header=BB22_15 Depth=3
	v_mov_b32_e32 v7, -1
	v_mov_b32_e32 v8, -1
	s_and_not1_b32 s26, s26, exec_lo
	s_and_not1_b32 s27, s27, exec_lo
	ds_cmpstore_rtn_b64 v[7:8], v15, v[5:6], v[7:8]
	s_waitcnt lgkmcnt(0)
	v_cmp_eq_u64_e32 vcc_lo, -1, v[7:8]
	v_cmp_ne_u64_e64 s2, -1, v[7:8]
	s_or_b32 s24, vcc_lo, s24
	s_delay_alu instid0(VALU_DEP_1)
	s_and_b32 s2, s2, exec_lo
	s_and_b32 s24, s24, exec_lo
	s_or_b32 s26, s26, s2
	s_or_b32 s27, s27, s24
	s_branch .LBB22_13
.LBB22_20:
	s_or_b32 exec_lo, exec_lo, s16
.LBB22_21:
	s_delay_alu instid0(SALU_CYCLE_1)
	s_or_b32 exec_lo, exec_lo, s3
.LBB22_22:
	s_load_b32 s2, s[0:1], 0x54
	s_waitcnt lgkmcnt(0)
	s_bfe_u32 s2, s2, 0x10008
	s_delay_alu instid0(SALU_CYCLE_1)
	s_cmp_eq_u32 s2, 0
	s_cbranch_scc1 .LBB22_36
; %bb.23:
	s_load_b64 s[2:3], s[0:1], 0x30
	s_lshl_b64 s[4:5], s[12:13], 2
	v_subrev_nc_u32_e32 v3, s6, v10
	s_waitcnt lgkmcnt(0)
	s_add_u32 s2, s2, s4
	s_addc_u32 s3, s3, s5
	s_load_b64 s[2:3], s[2:3], 0x0
	s_waitcnt lgkmcnt(0)
	v_add_nc_u32_e32 v3, s2, v3
	s_sub_i32 s7, s3, s6
	s_mov_b32 s3, exec_lo
	s_delay_alu instid0(VALU_DEP_1)
	v_cmpx_gt_i32_e64 s7, v3
	s_cbranch_execz .LBB22_35
; %bb.24:
	s_load_b64 s[4:5], s[0:1], 0x38
	s_mov_b32 s8, 0
	s_branch .LBB22_26
.LBB22_25:                              ;   in Loop: Header=BB22_26 Depth=1
	s_or_b32 exec_lo, exec_lo, s10
	v_add_nc_u32_e32 v3, 16, v3
	v_cndmask_b32_e64 v4, 0, 1, s9
	s_delay_alu instid0(VALU_DEP_2) | instskip(NEXT) | instid1(VALU_DEP_2)
	v_cmp_le_i32_e32 vcc_lo, s7, v3
	v_add_co_u32 v1, s2, v1, v4
	s_delay_alu instid0(VALU_DEP_1) | instskip(SKIP_1) | instid1(SALU_CYCLE_1)
	v_add_co_ci_u32_e64 v2, s2, 0, v2, s2
	s_or_b32 s8, vcc_lo, s8
	s_and_not1_b32 exec_lo, exec_lo, s8
	s_cbranch_execz .LBB22_34
.LBB22_26:                              ; =>This Loop Header: Depth=1
                                        ;     Child Loop BB22_29 Depth 2
	v_ashrrev_i32_e32 v4, 31, v3
	s_mov_b32 s10, 0
                                        ; implicit-def: $sgpr9
                                        ; implicit-def: $sgpr11
                                        ; implicit-def: $sgpr14
                                        ; implicit-def: $sgpr15
	s_delay_alu instid0(VALU_DEP_1) | instskip(SKIP_1) | instid1(VALU_DEP_1)
	v_lshlrev_b64 v[4:5], 3, v[3:4]
	s_waitcnt lgkmcnt(0)
	v_add_co_u32 v4, vcc_lo, s4, v4
	s_delay_alu instid0(VALU_DEP_2) | instskip(SKIP_4) | instid1(VALU_DEP_2)
	v_add_co_ci_u32_e32 v5, vcc_lo, s5, v5, vcc_lo
	global_load_b64 v[4:5], v[4:5], off
	s_waitcnt vmcnt(0)
	v_sub_co_u32 v4, vcc_lo, v4, s6
	v_subrev_co_ci_u32_e32 v5, vcc_lo, 0, v5, vcc_lo
	v_mul_lo_u32 v6, 0x4f, v4
	s_delay_alu instid0(VALU_DEP_1)
	v_and_b32_e32 v8, 0x7ff, v6
	s_branch .LBB22_29
.LBB22_27:                              ;   in Loop: Header=BB22_29 Depth=2
	s_or_b32 exec_lo, exec_lo, s19
	s_delay_alu instid0(SALU_CYCLE_1)
	s_and_not1_b32 s2, s14, exec_lo
	s_and_b32 s14, s18, exec_lo
	s_and_not1_b32 s11, s11, exec_lo
	s_and_b32 s15, s17, exec_lo
	s_or_b32 s14, s2, s14
	s_or_b32 s11, s11, s15
                                        ; implicit-def: $sgpr15
.LBB22_28:                              ;   in Loop: Header=BB22_29 Depth=2
	s_or_b32 exec_lo, exec_lo, s16
	s_xor_b32 s2, s11, -1
	s_delay_alu instid0(SALU_CYCLE_1) | instskip(NEXT) | instid1(SALU_CYCLE_1)
	s_and_b32 s2, exec_lo, s2
	s_or_b32 s10, s2, s10
	s_and_not1_b32 s2, s15, exec_lo
	s_and_b32 s16, s14, exec_lo
	s_and_not1_b32 s9, s9, exec_lo
	s_or_b32 s15, s2, s16
	s_or_b32 s9, s9, s16
	s_and_not1_b32 exec_lo, exec_lo, s10
	s_cbranch_execz .LBB22_25
.LBB22_29:                              ;   Parent Loop BB22_26 Depth=1
                                        ; =>  This Inner Loop Header: Depth=2
	s_delay_alu instid0(VALU_DEP_1)
	v_lshl_add_u32 v12, v8, 3, 0
	s_and_not1_b32 s14, s14, exec_lo
	s_and_not1_b32 s11, s11, exec_lo
	s_mov_b32 s16, exec_lo
	ds_load_b64 v[6:7], v12
	s_waitcnt lgkmcnt(0)
	v_cmpx_ne_u64_e64 v[6:7], v[4:5]
	s_cbranch_execz .LBB22_28
; %bb.30:                               ;   in Loop: Header=BB22_29 Depth=2
	s_mov_b32 s2, exec_lo
                                        ; implicit-def: $sgpr18
                                        ; implicit-def: $sgpr17
	v_cmpx_ne_u64_e32 -1, v[6:7]
	s_xor_b32 s2, exec_lo, s2
; %bb.31:                               ;   in Loop: Header=BB22_29 Depth=2
	v_add_nc_u32_e32 v6, 1, v8
	s_mov_b32 s17, -1
	s_and_b32 s18, s15, exec_lo
                                        ; implicit-def: $vgpr12
	s_delay_alu instid0(VALU_DEP_1)
	v_and_b32_e32 v8, 0x7ff, v6
; %bb.32:                               ;   in Loop: Header=BB22_29 Depth=2
	s_and_not1_saveexec_b32 s19, s2
	s_cbranch_execz .LBB22_27
; %bb.33:                               ;   in Loop: Header=BB22_29 Depth=2
	v_mov_b32_e32 v6, -1
	v_mov_b32_e32 v7, -1
	s_and_not1_b32 s17, s17, exec_lo
	s_and_not1_b32 s18, s18, exec_lo
	ds_cmpstore_rtn_b64 v[6:7], v12, v[4:5], v[6:7]
	s_waitcnt lgkmcnt(0)
	v_cmp_eq_u64_e32 vcc_lo, -1, v[6:7]
	v_cmp_ne_u64_e64 s2, -1, v[6:7]
	s_or_b32 s15, vcc_lo, s15
	s_delay_alu instid0(VALU_DEP_1)
	s_and_b32 s2, s2, exec_lo
	s_and_b32 s15, s15, exec_lo
	s_or_b32 s17, s17, s2
	s_or_b32 s18, s18, s15
	s_branch .LBB22_27
.LBB22_34:
	s_or_b32 exec_lo, exec_lo, s8
.LBB22_35:
	s_delay_alu instid0(SALU_CYCLE_1)
	s_or_b32 exec_lo, exec_lo, s3
.LBB22_36:
	v_mbcnt_lo_u32_b32 v6, -1, 0
	s_mov_b32 s2, exec_lo
	s_barrier
	buffer_gl0_inv
	v_xor_b32_e32 v3, 8, v6
	v_xor_b32_e32 v4, 4, v6
	;; [unrolled: 1-line block ×3, first 2 shown]
	s_delay_alu instid0(VALU_DEP_3) | instskip(SKIP_1) | instid1(VALU_DEP_4)
	v_cmp_gt_i32_e32 vcc_lo, 32, v3
	v_cndmask_b32_e32 v3, v6, v3, vcc_lo
	v_cmp_gt_i32_e32 vcc_lo, 32, v4
	v_cndmask_b32_e32 v4, v6, v4, vcc_lo
	s_delay_alu instid0(VALU_DEP_1) | instskip(NEXT) | instid1(VALU_DEP_4)
	v_lshlrev_b32_e32 v4, 2, v4
	v_lshlrev_b32_e32 v3, 2, v3
	ds_bpermute_b32 v5, v3, v1
	ds_bpermute_b32 v7, v3, v2
	s_waitcnt lgkmcnt(1)
	v_add_co_u32 v1, vcc_lo, v1, v5
	v_add_co_ci_u32_e32 v2, vcc_lo, 0, v2, vcc_lo
	v_xor_b32_e32 v5, 2, v6
	ds_bpermute_b32 v8, v4, v1
	v_add_co_u32 v1, vcc_lo, 0, v1
	s_waitcnt lgkmcnt(1)
	v_add_co_ci_u32_e32 v2, vcc_lo, v7, v2, vcc_lo
	v_cmp_gt_i32_e32 vcc_lo, 32, v5
	ds_bpermute_b32 v7, v4, v2
	v_cndmask_b32_e32 v5, v6, v5, vcc_lo
	s_delay_alu instid0(VALU_DEP_1)
	v_lshlrev_b32_e32 v5, 2, v5
	s_waitcnt lgkmcnt(1)
	v_add_co_u32 v1, vcc_lo, v1, v8
	v_add_co_ci_u32_e32 v2, vcc_lo, 0, v2, vcc_lo
	ds_bpermute_b32 v8, v5, v1
	v_add_co_u32 v1, vcc_lo, v1, 0
	s_waitcnt lgkmcnt(1)
	v_add_co_ci_u32_e32 v2, vcc_lo, v2, v7, vcc_lo
	v_cmp_gt_i32_e32 vcc_lo, 32, v12
	ds_bpermute_b32 v7, v5, v2
	v_cndmask_b32_e32 v6, v6, v12, vcc_lo
	s_delay_alu instid0(VALU_DEP_1) | instskip(SKIP_3) | instid1(VALU_DEP_2)
	v_lshlrev_b32_e32 v6, 2, v6
	s_waitcnt lgkmcnt(1)
	v_add_co_u32 v1, vcc_lo, v1, v8
	v_add_co_ci_u32_e32 v8, vcc_lo, 0, v2, vcc_lo
	v_add_co_u32 v2, vcc_lo, v1, 0
	s_waitcnt lgkmcnt(0)
	s_delay_alu instid0(VALU_DEP_2)
	v_add_co_ci_u32_e32 v7, vcc_lo, v8, v7, vcc_lo
	ds_bpermute_b32 v8, v6, v1
	ds_bpermute_b32 v1, v6, v7
	v_cmpx_eq_u32_e32 15, v11
	s_cbranch_execz .LBB22_38
; %bb.37:
	s_waitcnt lgkmcnt(1)
	v_add_co_u32 v2, vcc_lo, v2, v8
	v_add_co_ci_u32_e32 v8, vcc_lo, 0, v7, vcc_lo
	v_lshl_add_u32 v10, v10, 3, 0
	s_delay_alu instid0(VALU_DEP_3) | instskip(SKIP_1) | instid1(VALU_DEP_3)
	v_add_co_u32 v7, vcc_lo, v2, 0
	s_waitcnt lgkmcnt(0)
	v_add_co_ci_u32_e32 v8, vcc_lo, v8, v1, vcc_lo
	ds_store_b64 v10, v[7:8]
.LBB22_38:
	s_or_b32 exec_lo, exec_lo, s2
	s_delay_alu instid0(SALU_CYCLE_1)
	s_mov_b32 s2, exec_lo
	s_waitcnt lgkmcnt(0)
	v_mov_b32_e32 v1, 0
	v_mov_b32_e32 v2, 0
	s_barrier
	buffer_gl0_inv
	v_cmpx_gt_u32_e32 16, v0
	s_cbranch_execz .LBB22_40
; %bb.39:
	ds_load_b64 v[1:2], v9
.LBB22_40:
	s_or_b32 exec_lo, exec_lo, s2
	s_waitcnt lgkmcnt(0)
	ds_bpermute_b32 v2, v3, v1
	s_mov_b32 s2, exec_lo
	s_waitcnt lgkmcnt(0)
	v_add_nc_u32_e32 v1, v1, v2
	ds_bpermute_b32 v2, v4, v1
	s_waitcnt lgkmcnt(0)
	v_add_nc_u32_e32 v1, v1, v2
	ds_bpermute_b32 v2, v5, v1
	;; [unrolled: 3-line block ×3, first 2 shown]
	v_cmpx_eq_u32_e32 15, v0
	s_cbranch_execz .LBB22_42
; %bb.41:
	s_load_b64 s[0:1], s[0:1], 0x40
	s_lshl_b64 s[2:3], s[12:13], 2
	s_waitcnt lgkmcnt(0)
	v_dual_mov_b32 v0, 0 :: v_dual_add_nc_u32 v1, v2, v1
	s_add_u32 s0, s0, s2
	s_addc_u32 s1, s1, s3
	global_store_b32 v0, v1, s[0:1]
.LBB22_42:
	s_nop 0
	s_sendmsg sendmsg(MSG_DEALLOC_VGPRS)
	s_endpgm
	.section	.rodata,"a",@progbits
	.p2align	6, 0x0
	.amdhsa_kernel _ZN9rocsparseL25csrgemm_nnz_block_per_rowILj256ELj16ELj2048ELj79EilEEvPKT4_S3_PKT3_S3_S6_S3_S6_S3_PS4_21rocsparse_index_base_S8_S8_bb
		.amdhsa_group_segment_fixed_size 0
		.amdhsa_private_segment_fixed_size 0
		.amdhsa_kernarg_size 88
		.amdhsa_user_sgpr_count 15
		.amdhsa_user_sgpr_dispatch_ptr 0
		.amdhsa_user_sgpr_queue_ptr 0
		.amdhsa_user_sgpr_kernarg_segment_ptr 1
		.amdhsa_user_sgpr_dispatch_id 0
		.amdhsa_user_sgpr_private_segment_size 0
		.amdhsa_wavefront_size32 1
		.amdhsa_uses_dynamic_stack 0
		.amdhsa_enable_private_segment 0
		.amdhsa_system_sgpr_workgroup_id_x 1
		.amdhsa_system_sgpr_workgroup_id_y 0
		.amdhsa_system_sgpr_workgroup_id_z 0
		.amdhsa_system_sgpr_workgroup_info 0
		.amdhsa_system_vgpr_workitem_id 0
		.amdhsa_next_free_vgpr 16
		.amdhsa_next_free_sgpr 29
		.amdhsa_reserve_vcc 1
		.amdhsa_float_round_mode_32 0
		.amdhsa_float_round_mode_16_64 0
		.amdhsa_float_denorm_mode_32 3
		.amdhsa_float_denorm_mode_16_64 3
		.amdhsa_dx10_clamp 1
		.amdhsa_ieee_mode 1
		.amdhsa_fp16_overflow 0
		.amdhsa_workgroup_processor_mode 1
		.amdhsa_memory_ordered 1
		.amdhsa_forward_progress 0
		.amdhsa_shared_vgpr_count 0
		.amdhsa_exception_fp_ieee_invalid_op 0
		.amdhsa_exception_fp_denorm_src 0
		.amdhsa_exception_fp_ieee_div_zero 0
		.amdhsa_exception_fp_ieee_overflow 0
		.amdhsa_exception_fp_ieee_underflow 0
		.amdhsa_exception_fp_ieee_inexact 0
		.amdhsa_exception_int_div_zero 0
	.end_amdhsa_kernel
	.section	.text._ZN9rocsparseL25csrgemm_nnz_block_per_rowILj256ELj16ELj2048ELj79EilEEvPKT4_S3_PKT3_S3_S6_S3_S6_S3_PS4_21rocsparse_index_base_S8_S8_bb,"axG",@progbits,_ZN9rocsparseL25csrgemm_nnz_block_per_rowILj256ELj16ELj2048ELj79EilEEvPKT4_S3_PKT3_S3_S6_S3_S6_S3_PS4_21rocsparse_index_base_S8_S8_bb,comdat
.Lfunc_end22:
	.size	_ZN9rocsparseL25csrgemm_nnz_block_per_rowILj256ELj16ELj2048ELj79EilEEvPKT4_S3_PKT3_S3_S6_S3_S6_S3_PS4_21rocsparse_index_base_S8_S8_bb, .Lfunc_end22-_ZN9rocsparseL25csrgemm_nnz_block_per_rowILj256ELj16ELj2048ELj79EilEEvPKT4_S3_PKT3_S3_S6_S3_S6_S3_PS4_21rocsparse_index_base_S8_S8_bb
                                        ; -- End function
	.section	.AMDGPU.csdata,"",@progbits
; Kernel info:
; codeLenInByte = 2000
; NumSgprs: 31
; NumVgprs: 16
; ScratchSize: 0
; MemoryBound: 0
; FloatMode: 240
; IeeeMode: 1
; LDSByteSize: 0 bytes/workgroup (compile time only)
; SGPRBlocks: 3
; VGPRBlocks: 1
; NumSGPRsForWavesPerEU: 31
; NumVGPRsForWavesPerEU: 16
; Occupancy: 16
; WaveLimiterHint : 1
; COMPUTE_PGM_RSRC2:SCRATCH_EN: 0
; COMPUTE_PGM_RSRC2:USER_SGPR: 15
; COMPUTE_PGM_RSRC2:TRAP_HANDLER: 0
; COMPUTE_PGM_RSRC2:TGID_X_EN: 1
; COMPUTE_PGM_RSRC2:TGID_Y_EN: 0
; COMPUTE_PGM_RSRC2:TGID_Z_EN: 0
; COMPUTE_PGM_RSRC2:TIDIG_COMP_CNT: 0
	.section	.text._ZN9rocsparseL25csrgemm_nnz_block_per_rowILj512ELj16ELj4096ELj79EilEEvPKT4_S3_PKT3_S3_S6_S3_S6_S3_PS4_21rocsparse_index_base_S8_S8_bb,"axG",@progbits,_ZN9rocsparseL25csrgemm_nnz_block_per_rowILj512ELj16ELj4096ELj79EilEEvPKT4_S3_PKT3_S3_S6_S3_S6_S3_PS4_21rocsparse_index_base_S8_S8_bb,comdat
	.globl	_ZN9rocsparseL25csrgemm_nnz_block_per_rowILj512ELj16ELj4096ELj79EilEEvPKT4_S3_PKT3_S3_S6_S3_S6_S3_PS4_21rocsparse_index_base_S8_S8_bb ; -- Begin function _ZN9rocsparseL25csrgemm_nnz_block_per_rowILj512ELj16ELj4096ELj79EilEEvPKT4_S3_PKT3_S3_S6_S3_S6_S3_PS4_21rocsparse_index_base_S8_S8_bb
	.p2align	8
	.type	_ZN9rocsparseL25csrgemm_nnz_block_per_rowILj512ELj16ELj4096ELj79EilEEvPKT4_S3_PKT3_S3_S6_S3_S6_S3_PS4_21rocsparse_index_base_S8_S8_bb,@function
_ZN9rocsparseL25csrgemm_nnz_block_per_rowILj512ELj16ELj4096ELj79EilEEvPKT4_S3_PKT3_S3_S6_S3_S6_S3_PS4_21rocsparse_index_base_S8_S8_bb: ; @_ZN9rocsparseL25csrgemm_nnz_block_per_rowILj512ELj16ELj4096ELj79EilEEvPKT4_S3_PKT3_S3_S6_S3_S6_S3_PS4_21rocsparse_index_base_S8_S8_bb
; %bb.0:
	s_load_b128 s[4:7], s[0:1], 0x0
	s_mov_b32 s2, s15
	s_mov_b32 s3, 0
	v_lshl_add_u32 v9, v0, 3, 0
	v_or_b32_e32 v3, 0xc00, v0
	s_waitcnt lgkmcnt(0)
	s_load_b64 s[4:5], s[4:5], 0x0
	s_waitcnt lgkmcnt(0)
	s_lshl_b64 s[4:5], s[4:5], 3
	s_delay_alu instid0(SALU_CYCLE_1) | instskip(SKIP_2) | instid1(SALU_CYCLE_1)
	s_add_u32 s4, s6, s4
	s_addc_u32 s5, s7, s5
	s_lshl_b64 s[2:3], s[2:3], 3
	s_add_u32 s2, s4, s2
	s_addc_u32 s3, s5, s3
	s_load_b64 s[12:13], s[2:3], 0x0
	s_mov_b32 s2, -1
	s_delay_alu instid0(SALU_CYCLE_1) | instskip(NEXT) | instid1(SALU_CYCLE_1)
	s_mov_b32 s3, s2
	v_dual_mov_b32 v1, s2 :: v_dual_mov_b32 v2, s3
	s_mov_b32 s2, exec_lo
	ds_store_2addr_stride64_b64 v9, v[1:2], v[1:2] offset1:8
	ds_store_2addr_stride64_b64 v9, v[1:2], v[1:2] offset0:16 offset1:24
	ds_store_2addr_stride64_b64 v9, v[1:2], v[1:2] offset0:32 offset1:40
	ds_store_b64 v9, v[1:2] offset:24576
	v_cmpx_gt_u32_e32 0xe00, v3
	s_cbranch_execz .LBB23_2
; %bb.1:
	v_mov_b32_e32 v1, -1
	s_delay_alu instid0(VALU_DEP_1)
	v_mov_b32_e32 v2, v1
	ds_store_b64 v9, v[1:2] offset:28672
.LBB23_2:
	s_or_b32 exec_lo, exec_lo, s2
	s_load_b128 s[4:7], s[0:1], 0x48
	v_mov_b32_e32 v1, 0
	v_dual_mov_b32 v2, 0 :: v_dual_and_b32 v11, 15, v0
	v_lshrrev_b32_e32 v10, 4, v0
	s_waitcnt lgkmcnt(0)
	s_barrier
	buffer_gl0_inv
	s_bitcmp1_b32 s7, 0
	s_cselect_b32 s2, -1, 0
	s_delay_alu instid0(SALU_CYCLE_1)
	s_and_b32 vcc_lo, exec_lo, s2
	s_cbranch_vccz .LBB23_20
; %bb.3:
	s_load_b64 s[2:3], s[0:1], 0x10
	s_lshl_b64 s[8:9], s[12:13], 2
	v_subrev_nc_u32_e32 v1, s4, v10
	s_waitcnt lgkmcnt(0)
	s_add_u32 s2, s2, s8
	s_addc_u32 s3, s3, s9
	s_load_b64 s[2:3], s[2:3], 0x0
	s_waitcnt lgkmcnt(0)
	v_add_nc_u32_e32 v3, s2, v1
	v_mov_b32_e32 v1, 0
	v_mov_b32_e32 v2, 0
	s_sub_i32 s7, s3, s4
	s_mov_b32 s3, exec_lo
	v_cmpx_gt_i32_e64 s7, v3
	s_cbranch_execz .LBB23_19
; %bb.4:
	s_clause 0x1
	s_load_b128 s[8:11], s[0:1], 0x18
	s_load_b64 s[14:15], s[0:1], 0x28
	v_mov_b32_e32 v1, 0
	v_mov_b32_e32 v2, 0
	v_subrev_nc_u32_e32 v12, s5, v11
	s_mov_b32 s16, 0
	s_mov_b32 s17, s5
	s_branch .LBB23_7
.LBB23_5:                               ;   in Loop: Header=BB23_7 Depth=1
	s_or_b32 exec_lo, exec_lo, s19
.LBB23_6:                               ;   in Loop: Header=BB23_7 Depth=1
	s_delay_alu instid0(SALU_CYCLE_1) | instskip(SKIP_1) | instid1(VALU_DEP_1)
	s_or_b32 exec_lo, exec_lo, s18
	v_add_nc_u32_e32 v3, 32, v3
	v_cmp_le_i32_e32 vcc_lo, s7, v3
	s_or_b32 s16, vcc_lo, s16
	s_delay_alu instid0(SALU_CYCLE_1)
	s_and_not1_b32 exec_lo, exec_lo, s16
	s_cbranch_execz .LBB23_18
.LBB23_7:                               ; =>This Loop Header: Depth=1
                                        ;     Child Loop BB23_10 Depth 2
                                        ;       Child Loop BB23_13 Depth 3
	v_ashrrev_i32_e32 v4, 31, v3
	s_mov_b32 s18, exec_lo
	s_delay_alu instid0(VALU_DEP_1) | instskip(SKIP_1) | instid1(VALU_DEP_1)
	v_lshlrev_b64 v[4:5], 3, v[3:4]
	s_waitcnt lgkmcnt(0)
	v_add_co_u32 v4, vcc_lo, s8, v4
	s_delay_alu instid0(VALU_DEP_2) | instskip(SKIP_4) | instid1(VALU_DEP_1)
	v_add_co_ci_u32_e32 v5, vcc_lo, s9, v5, vcc_lo
	global_load_b64 v[4:5], v[4:5], off
	s_waitcnt vmcnt(0)
	v_sub_co_u32 v4, vcc_lo, v4, s4
	v_subrev_co_ci_u32_e32 v5, vcc_lo, 0, v5, vcc_lo
	v_lshlrev_b64 v[4:5], 2, v[4:5]
	s_delay_alu instid0(VALU_DEP_1) | instskip(NEXT) | instid1(VALU_DEP_2)
	v_add_co_u32 v4, vcc_lo, s10, v4
	v_add_co_ci_u32_e32 v5, vcc_lo, s11, v5, vcc_lo
	global_load_b64 v[4:5], v[4:5], off
	s_waitcnt vmcnt(0)
	v_subrev_nc_u32_e32 v13, s5, v5
	v_add_nc_u32_e32 v4, v12, v4
	s_delay_alu instid0(VALU_DEP_1)
	v_cmpx_lt_i32_e64 v4, v13
	s_cbranch_execz .LBB23_6
; %bb.8:                                ;   in Loop: Header=BB23_7 Depth=1
	s_mov_b32 s19, 0
	s_branch .LBB23_10
.LBB23_9:                               ;   in Loop: Header=BB23_10 Depth=2
	s_or_b32 exec_lo, exec_lo, s21
	v_add_nc_u32_e32 v4, 16, v4
	v_cndmask_b32_e64 v5, 0, 1, s20
	s_delay_alu instid0(VALU_DEP_2) | instskip(NEXT) | instid1(VALU_DEP_2)
	v_cmp_ge_i32_e32 vcc_lo, v4, v13
	v_add_co_u32 v1, s2, v1, v5
	s_delay_alu instid0(VALU_DEP_1) | instskip(SKIP_1) | instid1(SALU_CYCLE_1)
	v_add_co_ci_u32_e64 v2, s2, 0, v2, s2
	s_or_b32 s19, vcc_lo, s19
	s_and_not1_b32 exec_lo, exec_lo, s19
	s_cbranch_execz .LBB23_5
.LBB23_10:                              ;   Parent Loop BB23_7 Depth=1
                                        ; =>  This Loop Header: Depth=2
                                        ;       Child Loop BB23_13 Depth 3
	v_ashrrev_i32_e32 v5, 31, v4
	s_mov_b32 s21, 0
                                        ; implicit-def: $sgpr20
                                        ; implicit-def: $sgpr22
                                        ; implicit-def: $sgpr23
                                        ; implicit-def: $sgpr24
	s_delay_alu instid0(VALU_DEP_1) | instskip(NEXT) | instid1(VALU_DEP_1)
	v_lshlrev_b64 v[5:6], 3, v[4:5]
	v_add_co_u32 v5, vcc_lo, s14, v5
	s_delay_alu instid0(VALU_DEP_2) | instskip(SKIP_4) | instid1(VALU_DEP_2)
	v_add_co_ci_u32_e32 v6, vcc_lo, s15, v6, vcc_lo
	global_load_b64 v[5:6], v[5:6], off
	s_waitcnt vmcnt(0)
	v_sub_co_u32 v5, vcc_lo, v5, s17
	v_subrev_co_ci_u32_e32 v6, vcc_lo, 0, v6, vcc_lo
	v_mul_lo_u32 v7, 0x4f, v5
	s_delay_alu instid0(VALU_DEP_1)
	v_and_b32_e32 v14, 0xfff, v7
	s_branch .LBB23_13
.LBB23_11:                              ;   in Loop: Header=BB23_13 Depth=3
	s_or_b32 exec_lo, exec_lo, s28
	s_delay_alu instid0(SALU_CYCLE_1)
	s_and_not1_b32 s2, s23, exec_lo
	s_and_b32 s23, s27, exec_lo
	s_and_not1_b32 s22, s22, exec_lo
	s_and_b32 s24, s26, exec_lo
	s_or_b32 s23, s2, s23
	s_or_b32 s22, s22, s24
                                        ; implicit-def: $sgpr24
.LBB23_12:                              ;   in Loop: Header=BB23_13 Depth=3
	s_or_b32 exec_lo, exec_lo, s25
	s_xor_b32 s2, s22, -1
	s_delay_alu instid0(SALU_CYCLE_1) | instskip(NEXT) | instid1(SALU_CYCLE_1)
	s_and_b32 s2, exec_lo, s2
	s_or_b32 s21, s2, s21
	s_and_not1_b32 s2, s24, exec_lo
	s_and_b32 s25, s23, exec_lo
	s_and_not1_b32 s20, s20, exec_lo
	s_or_b32 s24, s2, s25
	s_or_b32 s20, s20, s25
	s_and_not1_b32 exec_lo, exec_lo, s21
	s_cbranch_execz .LBB23_9
.LBB23_13:                              ;   Parent Loop BB23_7 Depth=1
                                        ;     Parent Loop BB23_10 Depth=2
                                        ; =>    This Inner Loop Header: Depth=3
	s_delay_alu instid0(VALU_DEP_1)
	v_lshl_add_u32 v15, v14, 3, 0
	s_and_not1_b32 s23, s23, exec_lo
	s_and_not1_b32 s22, s22, exec_lo
	s_mov_b32 s25, exec_lo
	ds_load_b64 v[7:8], v15
	s_waitcnt lgkmcnt(0)
	v_cmpx_ne_u64_e64 v[7:8], v[5:6]
	s_cbranch_execz .LBB23_12
; %bb.14:                               ;   in Loop: Header=BB23_13 Depth=3
	s_mov_b32 s2, exec_lo
                                        ; implicit-def: $sgpr27
                                        ; implicit-def: $sgpr26
	v_cmpx_ne_u64_e32 -1, v[7:8]
	s_xor_b32 s2, exec_lo, s2
; %bb.15:                               ;   in Loop: Header=BB23_13 Depth=3
	v_add_nc_u32_e32 v7, 1, v14
	s_mov_b32 s26, -1
	s_and_b32 s27, s24, exec_lo
                                        ; implicit-def: $vgpr15
	s_delay_alu instid0(VALU_DEP_1)
	v_and_b32_e32 v14, 0xfff, v7
; %bb.16:                               ;   in Loop: Header=BB23_13 Depth=3
	s_and_not1_saveexec_b32 s28, s2
	s_cbranch_execz .LBB23_11
; %bb.17:                               ;   in Loop: Header=BB23_13 Depth=3
	v_mov_b32_e32 v7, -1
	v_mov_b32_e32 v8, -1
	s_and_not1_b32 s26, s26, exec_lo
	s_and_not1_b32 s27, s27, exec_lo
	ds_cmpstore_rtn_b64 v[7:8], v15, v[5:6], v[7:8]
	s_waitcnt lgkmcnt(0)
	v_cmp_eq_u64_e32 vcc_lo, -1, v[7:8]
	v_cmp_ne_u64_e64 s2, -1, v[7:8]
	s_or_b32 s24, vcc_lo, s24
	s_delay_alu instid0(VALU_DEP_1)
	s_and_b32 s2, s2, exec_lo
	s_and_b32 s24, s24, exec_lo
	s_or_b32 s26, s26, s2
	s_or_b32 s27, s27, s24
	s_branch .LBB23_11
.LBB23_18:
	s_or_b32 exec_lo, exec_lo, s16
.LBB23_19:
	s_delay_alu instid0(SALU_CYCLE_1)
	s_or_b32 exec_lo, exec_lo, s3
.LBB23_20:
	s_load_b32 s2, s[0:1], 0x54
	s_waitcnt lgkmcnt(0)
	s_bfe_u32 s2, s2, 0x10008
	s_delay_alu instid0(SALU_CYCLE_1)
	s_cmp_eq_u32 s2, 0
	s_cbranch_scc1 .LBB23_34
; %bb.21:
	s_load_b64 s[2:3], s[0:1], 0x30
	s_lshl_b64 s[4:5], s[12:13], 2
	v_subrev_nc_u32_e32 v3, s6, v10
	s_waitcnt lgkmcnt(0)
	s_add_u32 s2, s2, s4
	s_addc_u32 s3, s3, s5
	s_load_b64 s[2:3], s[2:3], 0x0
	s_waitcnt lgkmcnt(0)
	v_add_nc_u32_e32 v3, s2, v3
	s_sub_i32 s7, s3, s6
	s_mov_b32 s3, exec_lo
	s_delay_alu instid0(VALU_DEP_1)
	v_cmpx_gt_i32_e64 s7, v3
	s_cbranch_execz .LBB23_33
; %bb.22:
	s_load_b64 s[4:5], s[0:1], 0x38
	s_mov_b32 s8, 0
	s_branch .LBB23_24
.LBB23_23:                              ;   in Loop: Header=BB23_24 Depth=1
	s_or_b32 exec_lo, exec_lo, s10
	v_add_nc_u32_e32 v3, 32, v3
	v_cndmask_b32_e64 v4, 0, 1, s9
	s_delay_alu instid0(VALU_DEP_2) | instskip(NEXT) | instid1(VALU_DEP_2)
	v_cmp_le_i32_e32 vcc_lo, s7, v3
	v_add_co_u32 v1, s2, v1, v4
	s_delay_alu instid0(VALU_DEP_1) | instskip(SKIP_1) | instid1(SALU_CYCLE_1)
	v_add_co_ci_u32_e64 v2, s2, 0, v2, s2
	s_or_b32 s8, vcc_lo, s8
	s_and_not1_b32 exec_lo, exec_lo, s8
	s_cbranch_execz .LBB23_32
.LBB23_24:                              ; =>This Loop Header: Depth=1
                                        ;     Child Loop BB23_27 Depth 2
	v_ashrrev_i32_e32 v4, 31, v3
	s_mov_b32 s10, 0
                                        ; implicit-def: $sgpr9
                                        ; implicit-def: $sgpr11
                                        ; implicit-def: $sgpr14
                                        ; implicit-def: $sgpr15
	s_delay_alu instid0(VALU_DEP_1) | instskip(SKIP_1) | instid1(VALU_DEP_1)
	v_lshlrev_b64 v[4:5], 3, v[3:4]
	s_waitcnt lgkmcnt(0)
	v_add_co_u32 v4, vcc_lo, s4, v4
	s_delay_alu instid0(VALU_DEP_2) | instskip(SKIP_4) | instid1(VALU_DEP_2)
	v_add_co_ci_u32_e32 v5, vcc_lo, s5, v5, vcc_lo
	global_load_b64 v[4:5], v[4:5], off
	s_waitcnt vmcnt(0)
	v_sub_co_u32 v4, vcc_lo, v4, s6
	v_subrev_co_ci_u32_e32 v5, vcc_lo, 0, v5, vcc_lo
	v_mul_lo_u32 v6, 0x4f, v4
	s_delay_alu instid0(VALU_DEP_1)
	v_and_b32_e32 v8, 0xfff, v6
	s_branch .LBB23_27
.LBB23_25:                              ;   in Loop: Header=BB23_27 Depth=2
	s_or_b32 exec_lo, exec_lo, s19
	s_delay_alu instid0(SALU_CYCLE_1)
	s_and_not1_b32 s2, s14, exec_lo
	s_and_b32 s14, s18, exec_lo
	s_and_not1_b32 s11, s11, exec_lo
	s_and_b32 s15, s17, exec_lo
	s_or_b32 s14, s2, s14
	s_or_b32 s11, s11, s15
                                        ; implicit-def: $sgpr15
.LBB23_26:                              ;   in Loop: Header=BB23_27 Depth=2
	s_or_b32 exec_lo, exec_lo, s16
	s_xor_b32 s2, s11, -1
	s_delay_alu instid0(SALU_CYCLE_1) | instskip(NEXT) | instid1(SALU_CYCLE_1)
	s_and_b32 s2, exec_lo, s2
	s_or_b32 s10, s2, s10
	s_and_not1_b32 s2, s15, exec_lo
	s_and_b32 s16, s14, exec_lo
	s_and_not1_b32 s9, s9, exec_lo
	s_or_b32 s15, s2, s16
	s_or_b32 s9, s9, s16
	s_and_not1_b32 exec_lo, exec_lo, s10
	s_cbranch_execz .LBB23_23
.LBB23_27:                              ;   Parent Loop BB23_24 Depth=1
                                        ; =>  This Inner Loop Header: Depth=2
	s_delay_alu instid0(VALU_DEP_1)
	v_lshl_add_u32 v12, v8, 3, 0
	s_and_not1_b32 s14, s14, exec_lo
	s_and_not1_b32 s11, s11, exec_lo
	s_mov_b32 s16, exec_lo
	ds_load_b64 v[6:7], v12
	s_waitcnt lgkmcnt(0)
	v_cmpx_ne_u64_e64 v[6:7], v[4:5]
	s_cbranch_execz .LBB23_26
; %bb.28:                               ;   in Loop: Header=BB23_27 Depth=2
	s_mov_b32 s2, exec_lo
                                        ; implicit-def: $sgpr18
                                        ; implicit-def: $sgpr17
	v_cmpx_ne_u64_e32 -1, v[6:7]
	s_xor_b32 s2, exec_lo, s2
; %bb.29:                               ;   in Loop: Header=BB23_27 Depth=2
	v_add_nc_u32_e32 v6, 1, v8
	s_mov_b32 s17, -1
	s_and_b32 s18, s15, exec_lo
                                        ; implicit-def: $vgpr12
	s_delay_alu instid0(VALU_DEP_1)
	v_and_b32_e32 v8, 0xfff, v6
; %bb.30:                               ;   in Loop: Header=BB23_27 Depth=2
	s_and_not1_saveexec_b32 s19, s2
	s_cbranch_execz .LBB23_25
; %bb.31:                               ;   in Loop: Header=BB23_27 Depth=2
	v_mov_b32_e32 v6, -1
	v_mov_b32_e32 v7, -1
	s_and_not1_b32 s17, s17, exec_lo
	s_and_not1_b32 s18, s18, exec_lo
	ds_cmpstore_rtn_b64 v[6:7], v12, v[4:5], v[6:7]
	s_waitcnt lgkmcnt(0)
	v_cmp_eq_u64_e32 vcc_lo, -1, v[6:7]
	v_cmp_ne_u64_e64 s2, -1, v[6:7]
	s_or_b32 s15, vcc_lo, s15
	s_delay_alu instid0(VALU_DEP_1)
	s_and_b32 s2, s2, exec_lo
	s_and_b32 s15, s15, exec_lo
	s_or_b32 s17, s17, s2
	s_or_b32 s18, s18, s15
	s_branch .LBB23_25
.LBB23_32:
	s_or_b32 exec_lo, exec_lo, s8
.LBB23_33:
	s_delay_alu instid0(SALU_CYCLE_1)
	s_or_b32 exec_lo, exec_lo, s3
.LBB23_34:
	v_mbcnt_lo_u32_b32 v3, -1, 0
	s_mov_b32 s2, exec_lo
	s_barrier
	buffer_gl0_inv
	v_xor_b32_e32 v4, 8, v3
	v_xor_b32_e32 v5, 4, v3
	s_delay_alu instid0(VALU_DEP_2) | instskip(SKIP_1) | instid1(VALU_DEP_3)
	v_cmp_gt_i32_e32 vcc_lo, 32, v4
	v_cndmask_b32_e32 v4, v3, v4, vcc_lo
	v_cmp_gt_i32_e32 vcc_lo, 32, v5
	v_cndmask_b32_e32 v5, v3, v5, vcc_lo
	s_delay_alu instid0(VALU_DEP_1) | instskip(NEXT) | instid1(VALU_DEP_4)
	v_lshlrev_b32_e32 v5, 2, v5
	v_lshlrev_b32_e32 v4, 2, v4
	ds_bpermute_b32 v6, v4, v1
	ds_bpermute_b32 v7, v4, v2
	s_waitcnt lgkmcnt(1)
	v_add_co_u32 v1, vcc_lo, v1, v6
	v_add_co_ci_u32_e32 v2, vcc_lo, 0, v2, vcc_lo
	v_xor_b32_e32 v6, 2, v3
	ds_bpermute_b32 v8, v5, v1
	v_add_co_u32 v1, vcc_lo, 0, v1
	s_waitcnt lgkmcnt(1)
	v_add_co_ci_u32_e32 v2, vcc_lo, v7, v2, vcc_lo
	v_cmp_gt_i32_e32 vcc_lo, 32, v6
	ds_bpermute_b32 v7, v5, v2
	v_cndmask_b32_e32 v6, v3, v6, vcc_lo
	s_delay_alu instid0(VALU_DEP_1)
	v_lshlrev_b32_e32 v6, 2, v6
	s_waitcnt lgkmcnt(1)
	v_add_co_u32 v1, vcc_lo, v1, v8
	v_add_co_ci_u32_e32 v2, vcc_lo, 0, v2, vcc_lo
	ds_bpermute_b32 v8, v6, v1
	v_add_co_u32 v1, vcc_lo, v1, 0
	s_waitcnt lgkmcnt(1)
	v_add_co_ci_u32_e32 v2, vcc_lo, v2, v7, vcc_lo
	v_xor_b32_e32 v7, 1, v3
	ds_bpermute_b32 v12, v6, v2
	v_cmp_gt_i32_e32 vcc_lo, 32, v7
	v_cndmask_b32_e32 v7, v3, v7, vcc_lo
	s_delay_alu instid0(VALU_DEP_1) | instskip(SKIP_3) | instid1(VALU_DEP_2)
	v_lshlrev_b32_e32 v7, 2, v7
	s_waitcnt lgkmcnt(1)
	v_add_co_u32 v1, vcc_lo, v1, v8
	v_add_co_ci_u32_e32 v8, vcc_lo, 0, v2, vcc_lo
	v_add_co_u32 v2, vcc_lo, v1, 0
	s_waitcnt lgkmcnt(0)
	s_delay_alu instid0(VALU_DEP_2)
	v_add_co_ci_u32_e32 v8, vcc_lo, v8, v12, vcc_lo
	ds_bpermute_b32 v12, v7, v1
	ds_bpermute_b32 v1, v7, v8
	v_cmpx_eq_u32_e32 15, v11
	s_cbranch_execz .LBB23_36
; %bb.35:
	s_waitcnt lgkmcnt(1)
	v_add_co_u32 v2, vcc_lo, v2, v12
	v_add_co_ci_u32_e32 v8, vcc_lo, 0, v8, vcc_lo
	v_lshl_add_u32 v12, v10, 3, 0
	s_delay_alu instid0(VALU_DEP_3) | instskip(SKIP_1) | instid1(VALU_DEP_3)
	v_add_co_u32 v10, vcc_lo, v2, 0
	s_waitcnt lgkmcnt(0)
	v_add_co_ci_u32_e32 v11, vcc_lo, v8, v1, vcc_lo
	ds_store_b64 v12, v[10:11]
.LBB23_36:
	s_or_b32 exec_lo, exec_lo, s2
	s_delay_alu instid0(SALU_CYCLE_1)
	s_mov_b32 s2, exec_lo
	s_waitcnt lgkmcnt(0)
	v_mov_b32_e32 v1, 0
	v_mov_b32_e32 v2, 0
	s_barrier
	buffer_gl0_inv
	v_cmpx_gt_u32_e32 32, v0
	s_cbranch_execz .LBB23_38
; %bb.37:
	ds_load_b64 v[1:2], v9
.LBB23_38:
	s_or_b32 exec_lo, exec_lo, s2
	s_waitcnt lgkmcnt(0)
	v_xor_b32_e32 v2, 16, v3
	s_mov_b32 s2, exec_lo
	s_delay_alu instid0(VALU_DEP_1) | instskip(SKIP_1) | instid1(VALU_DEP_1)
	v_cmp_gt_i32_e32 vcc_lo, 32, v2
	v_cndmask_b32_e32 v2, v3, v2, vcc_lo
	v_lshlrev_b32_e32 v2, 2, v2
	ds_bpermute_b32 v2, v2, v1
	s_waitcnt lgkmcnt(0)
	v_add_nc_u32_e32 v1, v1, v2
	ds_bpermute_b32 v2, v4, v1
	s_waitcnt lgkmcnt(0)
	v_add_nc_u32_e32 v1, v1, v2
	;; [unrolled: 3-line block ×4, first 2 shown]
	ds_bpermute_b32 v2, v7, v1
	v_cmpx_eq_u32_e32 31, v0
	s_cbranch_execz .LBB23_40
; %bb.39:
	s_load_b64 s[0:1], s[0:1], 0x40
	s_lshl_b64 s[2:3], s[12:13], 2
	s_waitcnt lgkmcnt(0)
	v_dual_mov_b32 v0, 0 :: v_dual_add_nc_u32 v1, v2, v1
	s_add_u32 s0, s0, s2
	s_addc_u32 s1, s1, s3
	global_store_b32 v0, v1, s[0:1]
.LBB23_40:
	s_nop 0
	s_sendmsg sendmsg(MSG_DEALLOC_VGPRS)
	s_endpgm
	.section	.rodata,"a",@progbits
	.p2align	6, 0x0
	.amdhsa_kernel _ZN9rocsparseL25csrgemm_nnz_block_per_rowILj512ELj16ELj4096ELj79EilEEvPKT4_S3_PKT3_S3_S6_S3_S6_S3_PS4_21rocsparse_index_base_S8_S8_bb
		.amdhsa_group_segment_fixed_size 0
		.amdhsa_private_segment_fixed_size 0
		.amdhsa_kernarg_size 88
		.amdhsa_user_sgpr_count 15
		.amdhsa_user_sgpr_dispatch_ptr 0
		.amdhsa_user_sgpr_queue_ptr 0
		.amdhsa_user_sgpr_kernarg_segment_ptr 1
		.amdhsa_user_sgpr_dispatch_id 0
		.amdhsa_user_sgpr_private_segment_size 0
		.amdhsa_wavefront_size32 1
		.amdhsa_uses_dynamic_stack 0
		.amdhsa_enable_private_segment 0
		.amdhsa_system_sgpr_workgroup_id_x 1
		.amdhsa_system_sgpr_workgroup_id_y 0
		.amdhsa_system_sgpr_workgroup_id_z 0
		.amdhsa_system_sgpr_workgroup_info 0
		.amdhsa_system_vgpr_workitem_id 0
		.amdhsa_next_free_vgpr 16
		.amdhsa_next_free_sgpr 29
		.amdhsa_reserve_vcc 1
		.amdhsa_float_round_mode_32 0
		.amdhsa_float_round_mode_16_64 0
		.amdhsa_float_denorm_mode_32 3
		.amdhsa_float_denorm_mode_16_64 3
		.amdhsa_dx10_clamp 1
		.amdhsa_ieee_mode 1
		.amdhsa_fp16_overflow 0
		.amdhsa_workgroup_processor_mode 1
		.amdhsa_memory_ordered 1
		.amdhsa_forward_progress 0
		.amdhsa_shared_vgpr_count 0
		.amdhsa_exception_fp_ieee_invalid_op 0
		.amdhsa_exception_fp_denorm_src 0
		.amdhsa_exception_fp_ieee_div_zero 0
		.amdhsa_exception_fp_ieee_overflow 0
		.amdhsa_exception_fp_ieee_underflow 0
		.amdhsa_exception_fp_ieee_inexact 0
		.amdhsa_exception_int_div_zero 0
	.end_amdhsa_kernel
	.section	.text._ZN9rocsparseL25csrgemm_nnz_block_per_rowILj512ELj16ELj4096ELj79EilEEvPKT4_S3_PKT3_S3_S6_S3_S6_S3_PS4_21rocsparse_index_base_S8_S8_bb,"axG",@progbits,_ZN9rocsparseL25csrgemm_nnz_block_per_rowILj512ELj16ELj4096ELj79EilEEvPKT4_S3_PKT3_S3_S6_S3_S6_S3_PS4_21rocsparse_index_base_S8_S8_bb,comdat
.Lfunc_end23:
	.size	_ZN9rocsparseL25csrgemm_nnz_block_per_rowILj512ELj16ELj4096ELj79EilEEvPKT4_S3_PKT3_S3_S6_S3_S6_S3_PS4_21rocsparse_index_base_S8_S8_bb, .Lfunc_end23-_ZN9rocsparseL25csrgemm_nnz_block_per_rowILj512ELj16ELj4096ELj79EilEEvPKT4_S3_PKT3_S3_S6_S3_S6_S3_PS4_21rocsparse_index_base_S8_S8_bb
                                        ; -- End function
	.section	.AMDGPU.csdata,"",@progbits
; Kernel info:
; codeLenInByte = 1976
; NumSgprs: 31
; NumVgprs: 16
; ScratchSize: 0
; MemoryBound: 0
; FloatMode: 240
; IeeeMode: 1
; LDSByteSize: 0 bytes/workgroup (compile time only)
; SGPRBlocks: 3
; VGPRBlocks: 1
; NumSGPRsForWavesPerEU: 31
; NumVGPRsForWavesPerEU: 16
; Occupancy: 16
; WaveLimiterHint : 1
; COMPUTE_PGM_RSRC2:SCRATCH_EN: 0
; COMPUTE_PGM_RSRC2:USER_SGPR: 15
; COMPUTE_PGM_RSRC2:TRAP_HANDLER: 0
; COMPUTE_PGM_RSRC2:TGID_X_EN: 1
; COMPUTE_PGM_RSRC2:TGID_Y_EN: 0
; COMPUTE_PGM_RSRC2:TGID_Z_EN: 0
; COMPUTE_PGM_RSRC2:TIDIG_COMP_CNT: 0
	.section	.text._ZN9rocsparseL25csrgemm_nnz_block_per_rowILj1024ELj32ELj8192ELj79EilEEvPKT4_S3_PKT3_S3_S6_S3_S6_S3_PS4_21rocsparse_index_base_S8_S8_bb,"axG",@progbits,_ZN9rocsparseL25csrgemm_nnz_block_per_rowILj1024ELj32ELj8192ELj79EilEEvPKT4_S3_PKT3_S3_S6_S3_S6_S3_PS4_21rocsparse_index_base_S8_S8_bb,comdat
	.globl	_ZN9rocsparseL25csrgemm_nnz_block_per_rowILj1024ELj32ELj8192ELj79EilEEvPKT4_S3_PKT3_S3_S6_S3_S6_S3_PS4_21rocsparse_index_base_S8_S8_bb ; -- Begin function _ZN9rocsparseL25csrgemm_nnz_block_per_rowILj1024ELj32ELj8192ELj79EilEEvPKT4_S3_PKT3_S3_S6_S3_S6_S3_PS4_21rocsparse_index_base_S8_S8_bb
	.p2align	8
	.type	_ZN9rocsparseL25csrgemm_nnz_block_per_rowILj1024ELj32ELj8192ELj79EilEEvPKT4_S3_PKT3_S3_S6_S3_S6_S3_PS4_21rocsparse_index_base_S8_S8_bb,@function
_ZN9rocsparseL25csrgemm_nnz_block_per_rowILj1024ELj32ELj8192ELj79EilEEvPKT4_S3_PKT3_S3_S6_S3_S6_S3_PS4_21rocsparse_index_base_S8_S8_bb: ; @_ZN9rocsparseL25csrgemm_nnz_block_per_rowILj1024ELj32ELj8192ELj79EilEEvPKT4_S3_PKT3_S3_S6_S3_S6_S3_PS4_21rocsparse_index_base_S8_S8_bb
; %bb.0:
	s_clause 0x1
	s_load_b128 s[8:11], s[0:1], 0x0
	s_load_b128 s[4:7], s[0:1], 0x48
	s_mov_b32 s2, s15
	s_mov_b32 s3, 0
	v_lshl_add_u32 v9, v0, 3, 0
	v_and_b32_e32 v11, 31, v0
	v_lshrrev_b32_e32 v10, 5, v0
	s_waitcnt lgkmcnt(0)
	s_load_b64 s[8:9], s[8:9], 0x0
	s_waitcnt lgkmcnt(0)
	s_lshl_b64 s[8:9], s[8:9], 3
	s_delay_alu instid0(SALU_CYCLE_1) | instskip(SKIP_2) | instid1(SALU_CYCLE_1)
	s_add_u32 s8, s10, s8
	s_addc_u32 s9, s11, s9
	s_lshl_b64 s[2:3], s[2:3], 3
	s_add_u32 s2, s8, s2
	s_addc_u32 s3, s9, s3
	s_bitcmp0_b32 s7, 0
	s_load_b64 s[12:13], s[2:3], 0x0
	s_mov_b32 s2, -1
	s_delay_alu instid0(SALU_CYCLE_1) | instskip(NEXT) | instid1(SALU_CYCLE_1)
	s_mov_b32 s3, s2
	v_dual_mov_b32 v1, s2 :: v_dual_mov_b32 v2, s3
	ds_store_2addr_stride64_b64 v9, v[1:2], v[1:2] offset1:16
	ds_store_2addr_stride64_b64 v9, v[1:2], v[1:2] offset0:32 offset1:48
	ds_store_2addr_stride64_b64 v9, v[1:2], v[1:2] offset0:64 offset1:80
	;; [unrolled: 1-line block ×3, first 2 shown]
	v_mov_b32_e32 v1, 0
	v_mov_b32_e32 v2, 0
	s_waitcnt lgkmcnt(0)
	s_barrier
	buffer_gl0_inv
	s_cbranch_scc1 .LBB24_18
; %bb.1:
	s_load_b64 s[2:3], s[0:1], 0x10
	s_lshl_b64 s[8:9], s[12:13], 2
	v_subrev_nc_u32_e32 v1, s4, v10
	s_waitcnt lgkmcnt(0)
	s_add_u32 s2, s2, s8
	s_addc_u32 s3, s3, s9
	s_load_b64 s[2:3], s[2:3], 0x0
	s_waitcnt lgkmcnt(0)
	v_add_nc_u32_e32 v3, s2, v1
	v_mov_b32_e32 v1, 0
	v_mov_b32_e32 v2, 0
	s_sub_i32 s7, s3, s4
	s_mov_b32 s3, exec_lo
	v_cmpx_gt_i32_e64 s7, v3
	s_cbranch_execz .LBB24_17
; %bb.2:
	s_clause 0x1
	s_load_b128 s[8:11], s[0:1], 0x18
	s_load_b64 s[14:15], s[0:1], 0x28
	v_mov_b32_e32 v1, 0
	v_mov_b32_e32 v2, 0
	v_subrev_nc_u32_e32 v12, s5, v11
	s_mov_b32 s16, 0
	s_mov_b32 s17, s5
	s_branch .LBB24_5
.LBB24_3:                               ;   in Loop: Header=BB24_5 Depth=1
	s_or_b32 exec_lo, exec_lo, s19
.LBB24_4:                               ;   in Loop: Header=BB24_5 Depth=1
	s_delay_alu instid0(SALU_CYCLE_1) | instskip(SKIP_1) | instid1(VALU_DEP_1)
	s_or_b32 exec_lo, exec_lo, s18
	v_add_nc_u32_e32 v3, 32, v3
	v_cmp_le_i32_e32 vcc_lo, s7, v3
	s_or_b32 s16, vcc_lo, s16
	s_delay_alu instid0(SALU_CYCLE_1)
	s_and_not1_b32 exec_lo, exec_lo, s16
	s_cbranch_execz .LBB24_16
.LBB24_5:                               ; =>This Loop Header: Depth=1
                                        ;     Child Loop BB24_8 Depth 2
                                        ;       Child Loop BB24_11 Depth 3
	v_ashrrev_i32_e32 v4, 31, v3
	s_mov_b32 s18, exec_lo
	s_delay_alu instid0(VALU_DEP_1) | instskip(SKIP_1) | instid1(VALU_DEP_1)
	v_lshlrev_b64 v[4:5], 3, v[3:4]
	s_waitcnt lgkmcnt(0)
	v_add_co_u32 v4, vcc_lo, s8, v4
	s_delay_alu instid0(VALU_DEP_2) | instskip(SKIP_4) | instid1(VALU_DEP_1)
	v_add_co_ci_u32_e32 v5, vcc_lo, s9, v5, vcc_lo
	global_load_b64 v[4:5], v[4:5], off
	s_waitcnt vmcnt(0)
	v_sub_co_u32 v4, vcc_lo, v4, s4
	v_subrev_co_ci_u32_e32 v5, vcc_lo, 0, v5, vcc_lo
	v_lshlrev_b64 v[4:5], 2, v[4:5]
	s_delay_alu instid0(VALU_DEP_1) | instskip(NEXT) | instid1(VALU_DEP_2)
	v_add_co_u32 v4, vcc_lo, s10, v4
	v_add_co_ci_u32_e32 v5, vcc_lo, s11, v5, vcc_lo
	global_load_b64 v[4:5], v[4:5], off
	s_waitcnt vmcnt(0)
	v_subrev_nc_u32_e32 v13, s5, v5
	v_add_nc_u32_e32 v4, v12, v4
	s_delay_alu instid0(VALU_DEP_1)
	v_cmpx_lt_i32_e64 v4, v13
	s_cbranch_execz .LBB24_4
; %bb.6:                                ;   in Loop: Header=BB24_5 Depth=1
	s_mov_b32 s19, 0
	s_branch .LBB24_8
.LBB24_7:                               ;   in Loop: Header=BB24_8 Depth=2
	s_or_b32 exec_lo, exec_lo, s21
	v_add_nc_u32_e32 v4, 32, v4
	v_cndmask_b32_e64 v5, 0, 1, s20
	s_delay_alu instid0(VALU_DEP_2) | instskip(NEXT) | instid1(VALU_DEP_2)
	v_cmp_ge_i32_e32 vcc_lo, v4, v13
	v_add_co_u32 v1, s2, v1, v5
	s_delay_alu instid0(VALU_DEP_1) | instskip(SKIP_1) | instid1(SALU_CYCLE_1)
	v_add_co_ci_u32_e64 v2, s2, 0, v2, s2
	s_or_b32 s19, vcc_lo, s19
	s_and_not1_b32 exec_lo, exec_lo, s19
	s_cbranch_execz .LBB24_3
.LBB24_8:                               ;   Parent Loop BB24_5 Depth=1
                                        ; =>  This Loop Header: Depth=2
                                        ;       Child Loop BB24_11 Depth 3
	v_ashrrev_i32_e32 v5, 31, v4
	s_mov_b32 s21, 0
                                        ; implicit-def: $sgpr20
                                        ; implicit-def: $sgpr22
                                        ; implicit-def: $sgpr23
                                        ; implicit-def: $sgpr24
	s_delay_alu instid0(VALU_DEP_1) | instskip(NEXT) | instid1(VALU_DEP_1)
	v_lshlrev_b64 v[5:6], 3, v[4:5]
	v_add_co_u32 v5, vcc_lo, s14, v5
	s_delay_alu instid0(VALU_DEP_2) | instskip(SKIP_4) | instid1(VALU_DEP_2)
	v_add_co_ci_u32_e32 v6, vcc_lo, s15, v6, vcc_lo
	global_load_b64 v[5:6], v[5:6], off
	s_waitcnt vmcnt(0)
	v_sub_co_u32 v5, vcc_lo, v5, s17
	v_subrev_co_ci_u32_e32 v6, vcc_lo, 0, v6, vcc_lo
	v_mul_lo_u32 v7, 0x4f, v5
	s_delay_alu instid0(VALU_DEP_1)
	v_and_b32_e32 v14, 0x1fff, v7
	s_branch .LBB24_11
.LBB24_9:                               ;   in Loop: Header=BB24_11 Depth=3
	s_or_b32 exec_lo, exec_lo, s28
	s_delay_alu instid0(SALU_CYCLE_1)
	s_and_not1_b32 s2, s23, exec_lo
	s_and_b32 s23, s27, exec_lo
	s_and_not1_b32 s22, s22, exec_lo
	s_and_b32 s24, s26, exec_lo
	s_or_b32 s23, s2, s23
	s_or_b32 s22, s22, s24
                                        ; implicit-def: $sgpr24
.LBB24_10:                              ;   in Loop: Header=BB24_11 Depth=3
	s_or_b32 exec_lo, exec_lo, s25
	s_xor_b32 s2, s22, -1
	s_delay_alu instid0(SALU_CYCLE_1) | instskip(NEXT) | instid1(SALU_CYCLE_1)
	s_and_b32 s2, exec_lo, s2
	s_or_b32 s21, s2, s21
	s_and_not1_b32 s2, s24, exec_lo
	s_and_b32 s25, s23, exec_lo
	s_and_not1_b32 s20, s20, exec_lo
	s_or_b32 s24, s2, s25
	s_or_b32 s20, s20, s25
	s_and_not1_b32 exec_lo, exec_lo, s21
	s_cbranch_execz .LBB24_7
.LBB24_11:                              ;   Parent Loop BB24_5 Depth=1
                                        ;     Parent Loop BB24_8 Depth=2
                                        ; =>    This Inner Loop Header: Depth=3
	s_delay_alu instid0(VALU_DEP_1)
	v_lshl_add_u32 v15, v14, 3, 0
	s_and_not1_b32 s23, s23, exec_lo
	s_and_not1_b32 s22, s22, exec_lo
	s_mov_b32 s25, exec_lo
	ds_load_b64 v[7:8], v15
	s_waitcnt lgkmcnt(0)
	v_cmpx_ne_u64_e64 v[7:8], v[5:6]
	s_cbranch_execz .LBB24_10
; %bb.12:                               ;   in Loop: Header=BB24_11 Depth=3
	s_mov_b32 s2, exec_lo
                                        ; implicit-def: $sgpr27
                                        ; implicit-def: $sgpr26
	v_cmpx_ne_u64_e32 -1, v[7:8]
	s_xor_b32 s2, exec_lo, s2
; %bb.13:                               ;   in Loop: Header=BB24_11 Depth=3
	v_add_nc_u32_e32 v7, 1, v14
	s_mov_b32 s26, -1
	s_and_b32 s27, s24, exec_lo
                                        ; implicit-def: $vgpr15
	s_delay_alu instid0(VALU_DEP_1)
	v_and_b32_e32 v14, 0x1fff, v7
; %bb.14:                               ;   in Loop: Header=BB24_11 Depth=3
	s_and_not1_saveexec_b32 s28, s2
	s_cbranch_execz .LBB24_9
; %bb.15:                               ;   in Loop: Header=BB24_11 Depth=3
	v_mov_b32_e32 v7, -1
	v_mov_b32_e32 v8, -1
	s_and_not1_b32 s26, s26, exec_lo
	s_and_not1_b32 s27, s27, exec_lo
	ds_cmpstore_rtn_b64 v[7:8], v15, v[5:6], v[7:8]
	s_waitcnt lgkmcnt(0)
	v_cmp_eq_u64_e32 vcc_lo, -1, v[7:8]
	v_cmp_ne_u64_e64 s2, -1, v[7:8]
	s_or_b32 s24, vcc_lo, s24
	s_delay_alu instid0(VALU_DEP_1)
	s_and_b32 s2, s2, exec_lo
	s_and_b32 s24, s24, exec_lo
	s_or_b32 s26, s26, s2
	s_or_b32 s27, s27, s24
	s_branch .LBB24_9
.LBB24_16:
	s_or_b32 exec_lo, exec_lo, s16
.LBB24_17:
	s_delay_alu instid0(SALU_CYCLE_1)
	s_or_b32 exec_lo, exec_lo, s3
.LBB24_18:
	s_load_b32 s2, s[0:1], 0x54
	s_waitcnt lgkmcnt(0)
	s_bfe_u32 s2, s2, 0x10008
	s_delay_alu instid0(SALU_CYCLE_1)
	s_cmp_eq_u32 s2, 0
	s_cbranch_scc1 .LBB24_32
; %bb.19:
	s_load_b64 s[2:3], s[0:1], 0x30
	s_lshl_b64 s[4:5], s[12:13], 2
	v_subrev_nc_u32_e32 v3, s6, v10
	s_waitcnt lgkmcnt(0)
	s_add_u32 s2, s2, s4
	s_addc_u32 s3, s3, s5
	s_load_b64 s[2:3], s[2:3], 0x0
	s_waitcnt lgkmcnt(0)
	v_add_nc_u32_e32 v3, s2, v3
	s_sub_i32 s7, s3, s6
	s_mov_b32 s3, exec_lo
	s_delay_alu instid0(VALU_DEP_1)
	v_cmpx_gt_i32_e64 s7, v3
	s_cbranch_execz .LBB24_31
; %bb.20:
	s_load_b64 s[4:5], s[0:1], 0x38
	s_mov_b32 s8, 0
	s_branch .LBB24_22
.LBB24_21:                              ;   in Loop: Header=BB24_22 Depth=1
	s_or_b32 exec_lo, exec_lo, s10
	v_add_nc_u32_e32 v3, 32, v3
	v_cndmask_b32_e64 v4, 0, 1, s9
	s_delay_alu instid0(VALU_DEP_2) | instskip(NEXT) | instid1(VALU_DEP_2)
	v_cmp_le_i32_e32 vcc_lo, s7, v3
	v_add_co_u32 v1, s2, v1, v4
	s_delay_alu instid0(VALU_DEP_1) | instskip(SKIP_1) | instid1(SALU_CYCLE_1)
	v_add_co_ci_u32_e64 v2, s2, 0, v2, s2
	s_or_b32 s8, vcc_lo, s8
	s_and_not1_b32 exec_lo, exec_lo, s8
	s_cbranch_execz .LBB24_30
.LBB24_22:                              ; =>This Loop Header: Depth=1
                                        ;     Child Loop BB24_25 Depth 2
	v_ashrrev_i32_e32 v4, 31, v3
	s_mov_b32 s10, 0
                                        ; implicit-def: $sgpr9
                                        ; implicit-def: $sgpr11
                                        ; implicit-def: $sgpr14
                                        ; implicit-def: $sgpr15
	s_delay_alu instid0(VALU_DEP_1) | instskip(SKIP_1) | instid1(VALU_DEP_1)
	v_lshlrev_b64 v[4:5], 3, v[3:4]
	s_waitcnt lgkmcnt(0)
	v_add_co_u32 v4, vcc_lo, s4, v4
	s_delay_alu instid0(VALU_DEP_2) | instskip(SKIP_4) | instid1(VALU_DEP_2)
	v_add_co_ci_u32_e32 v5, vcc_lo, s5, v5, vcc_lo
	global_load_b64 v[4:5], v[4:5], off
	s_waitcnt vmcnt(0)
	v_sub_co_u32 v4, vcc_lo, v4, s6
	v_subrev_co_ci_u32_e32 v5, vcc_lo, 0, v5, vcc_lo
	v_mul_lo_u32 v6, 0x4f, v4
	s_delay_alu instid0(VALU_DEP_1)
	v_and_b32_e32 v8, 0x1fff, v6
	s_branch .LBB24_25
.LBB24_23:                              ;   in Loop: Header=BB24_25 Depth=2
	s_or_b32 exec_lo, exec_lo, s19
	s_delay_alu instid0(SALU_CYCLE_1)
	s_and_not1_b32 s2, s14, exec_lo
	s_and_b32 s14, s18, exec_lo
	s_and_not1_b32 s11, s11, exec_lo
	s_and_b32 s15, s17, exec_lo
	s_or_b32 s14, s2, s14
	s_or_b32 s11, s11, s15
                                        ; implicit-def: $sgpr15
.LBB24_24:                              ;   in Loop: Header=BB24_25 Depth=2
	s_or_b32 exec_lo, exec_lo, s16
	s_xor_b32 s2, s11, -1
	s_delay_alu instid0(SALU_CYCLE_1) | instskip(NEXT) | instid1(SALU_CYCLE_1)
	s_and_b32 s2, exec_lo, s2
	s_or_b32 s10, s2, s10
	s_and_not1_b32 s2, s15, exec_lo
	s_and_b32 s16, s14, exec_lo
	s_and_not1_b32 s9, s9, exec_lo
	s_or_b32 s15, s2, s16
	s_or_b32 s9, s9, s16
	s_and_not1_b32 exec_lo, exec_lo, s10
	s_cbranch_execz .LBB24_21
.LBB24_25:                              ;   Parent Loop BB24_22 Depth=1
                                        ; =>  This Inner Loop Header: Depth=2
	s_delay_alu instid0(VALU_DEP_1)
	v_lshl_add_u32 v12, v8, 3, 0
	s_and_not1_b32 s14, s14, exec_lo
	s_and_not1_b32 s11, s11, exec_lo
	s_mov_b32 s16, exec_lo
	ds_load_b64 v[6:7], v12
	s_waitcnt lgkmcnt(0)
	v_cmpx_ne_u64_e64 v[6:7], v[4:5]
	s_cbranch_execz .LBB24_24
; %bb.26:                               ;   in Loop: Header=BB24_25 Depth=2
	s_mov_b32 s2, exec_lo
                                        ; implicit-def: $sgpr18
                                        ; implicit-def: $sgpr17
	v_cmpx_ne_u64_e32 -1, v[6:7]
	s_xor_b32 s2, exec_lo, s2
; %bb.27:                               ;   in Loop: Header=BB24_25 Depth=2
	v_add_nc_u32_e32 v6, 1, v8
	s_mov_b32 s17, -1
	s_and_b32 s18, s15, exec_lo
                                        ; implicit-def: $vgpr12
	s_delay_alu instid0(VALU_DEP_1)
	v_and_b32_e32 v8, 0x1fff, v6
; %bb.28:                               ;   in Loop: Header=BB24_25 Depth=2
	s_and_not1_saveexec_b32 s19, s2
	s_cbranch_execz .LBB24_23
; %bb.29:                               ;   in Loop: Header=BB24_25 Depth=2
	v_mov_b32_e32 v6, -1
	v_mov_b32_e32 v7, -1
	s_and_not1_b32 s17, s17, exec_lo
	s_and_not1_b32 s18, s18, exec_lo
	ds_cmpstore_rtn_b64 v[6:7], v12, v[4:5], v[6:7]
	s_waitcnt lgkmcnt(0)
	v_cmp_eq_u64_e32 vcc_lo, -1, v[6:7]
	v_cmp_ne_u64_e64 s2, -1, v[6:7]
	s_or_b32 s15, vcc_lo, s15
	s_delay_alu instid0(VALU_DEP_1)
	s_and_b32 s2, s2, exec_lo
	s_and_b32 s15, s15, exec_lo
	s_or_b32 s17, s17, s2
	s_or_b32 s18, s18, s15
	s_branch .LBB24_23
.LBB24_30:
	s_or_b32 exec_lo, exec_lo, s8
.LBB24_31:
	s_delay_alu instid0(SALU_CYCLE_1)
	s_or_b32 exec_lo, exec_lo, s3
.LBB24_32:
	v_mbcnt_lo_u32_b32 v7, -1, 0
	s_mov_b32 s2, exec_lo
	s_barrier
	buffer_gl0_inv
	v_xor_b32_e32 v3, 16, v7
	v_xor_b32_e32 v4, 8, v7
	;; [unrolled: 1-line block ×3, first 2 shown]
	s_delay_alu instid0(VALU_DEP_3) | instskip(SKIP_1) | instid1(VALU_DEP_4)
	v_cmp_gt_i32_e32 vcc_lo, 32, v3
	v_cndmask_b32_e32 v3, v7, v3, vcc_lo
	v_cmp_gt_i32_e32 vcc_lo, 32, v4
	v_cndmask_b32_e32 v4, v7, v4, vcc_lo
	s_delay_alu instid0(VALU_DEP_1) | instskip(NEXT) | instid1(VALU_DEP_4)
	v_lshlrev_b32_e32 v4, 2, v4
	v_lshlrev_b32_e32 v3, 2, v3
	ds_bpermute_b32 v5, v3, v1
	ds_bpermute_b32 v6, v3, v2
	s_waitcnt lgkmcnt(1)
	v_add_co_u32 v1, vcc_lo, v1, v5
	v_add_co_ci_u32_e32 v2, vcc_lo, 0, v2, vcc_lo
	v_xor_b32_e32 v5, 4, v7
	ds_bpermute_b32 v8, v4, v1
	v_add_co_u32 v1, vcc_lo, 0, v1
	s_waitcnt lgkmcnt(1)
	v_add_co_ci_u32_e32 v2, vcc_lo, v6, v2, vcc_lo
	v_cmp_gt_i32_e32 vcc_lo, 32, v5
	ds_bpermute_b32 v6, v4, v2
	v_cndmask_b32_e32 v5, v7, v5, vcc_lo
	s_delay_alu instid0(VALU_DEP_1)
	v_lshlrev_b32_e32 v5, 2, v5
	s_waitcnt lgkmcnt(1)
	v_add_co_u32 v1, vcc_lo, v1, v8
	v_add_co_ci_u32_e32 v2, vcc_lo, 0, v2, vcc_lo
	ds_bpermute_b32 v8, v5, v1
	v_add_co_u32 v1, vcc_lo, v1, 0
	s_waitcnt lgkmcnt(1)
	v_add_co_ci_u32_e32 v2, vcc_lo, v2, v6, vcc_lo
	v_xor_b32_e32 v6, 2, v7
	ds_bpermute_b32 v12, v5, v2
	v_cmp_gt_i32_e32 vcc_lo, 32, v6
	v_cndmask_b32_e32 v6, v7, v6, vcc_lo
	s_delay_alu instid0(VALU_DEP_1)
	v_lshlrev_b32_e32 v6, 2, v6
	s_waitcnt lgkmcnt(1)
	v_add_co_u32 v1, vcc_lo, v1, v8
	v_add_co_ci_u32_e32 v2, vcc_lo, 0, v2, vcc_lo
	ds_bpermute_b32 v8, v6, v1
	v_add_co_u32 v1, vcc_lo, v1, 0
	s_waitcnt lgkmcnt(1)
	v_add_co_ci_u32_e32 v2, vcc_lo, v2, v12, vcc_lo
	v_cmp_gt_i32_e32 vcc_lo, 32, v13
	ds_bpermute_b32 v12, v6, v2
	v_cndmask_b32_e32 v7, v7, v13, vcc_lo
	s_delay_alu instid0(VALU_DEP_1) | instskip(SKIP_3) | instid1(VALU_DEP_2)
	v_lshlrev_b32_e32 v7, 2, v7
	s_waitcnt lgkmcnt(1)
	v_add_co_u32 v1, vcc_lo, v1, v8
	v_add_co_ci_u32_e32 v8, vcc_lo, 0, v2, vcc_lo
	v_add_co_u32 v2, vcc_lo, v1, 0
	s_waitcnt lgkmcnt(0)
	s_delay_alu instid0(VALU_DEP_2)
	v_add_co_ci_u32_e32 v8, vcc_lo, v8, v12, vcc_lo
	ds_bpermute_b32 v12, v7, v1
	ds_bpermute_b32 v1, v7, v8
	v_cmpx_eq_u32_e32 31, v11
	s_cbranch_execz .LBB24_34
; %bb.33:
	s_waitcnt lgkmcnt(1)
	v_add_co_u32 v2, vcc_lo, v2, v12
	v_add_co_ci_u32_e32 v8, vcc_lo, 0, v8, vcc_lo
	v_lshl_add_u32 v12, v10, 3, 0
	s_delay_alu instid0(VALU_DEP_3) | instskip(SKIP_1) | instid1(VALU_DEP_3)
	v_add_co_u32 v10, vcc_lo, v2, 0
	s_waitcnt lgkmcnt(0)
	v_add_co_ci_u32_e32 v11, vcc_lo, v8, v1, vcc_lo
	ds_store_b64 v12, v[10:11]
.LBB24_34:
	s_or_b32 exec_lo, exec_lo, s2
	s_delay_alu instid0(SALU_CYCLE_1)
	s_mov_b32 s2, exec_lo
	s_waitcnt lgkmcnt(0)
	v_mov_b32_e32 v1, 0
	v_mov_b32_e32 v2, 0
	s_barrier
	buffer_gl0_inv
	v_cmpx_gt_u32_e32 32, v0
	s_cbranch_execz .LBB24_36
; %bb.35:
	ds_load_b64 v[1:2], v9
.LBB24_36:
	s_or_b32 exec_lo, exec_lo, s2
	s_waitcnt lgkmcnt(0)
	ds_bpermute_b32 v2, v3, v1
	s_mov_b32 s2, exec_lo
	s_waitcnt lgkmcnt(0)
	v_add_nc_u32_e32 v1, v1, v2
	ds_bpermute_b32 v2, v4, v1
	s_waitcnt lgkmcnt(0)
	v_add_nc_u32_e32 v1, v1, v2
	ds_bpermute_b32 v2, v5, v1
	;; [unrolled: 3-line block ×4, first 2 shown]
	v_cmpx_eq_u32_e32 31, v0
	s_cbranch_execz .LBB24_38
; %bb.37:
	s_load_b64 s[0:1], s[0:1], 0x40
	s_lshl_b64 s[2:3], s[12:13], 2
	s_waitcnt lgkmcnt(0)
	v_dual_mov_b32 v0, 0 :: v_dual_add_nc_u32 v1, v2, v1
	s_add_u32 s0, s0, s2
	s_addc_u32 s1, s1, s3
	global_store_b32 v0, v1, s[0:1]
.LBB24_38:
	s_nop 0
	s_sendmsg sendmsg(MSG_DEALLOC_VGPRS)
	s_endpgm
	.section	.rodata,"a",@progbits
	.p2align	6, 0x0
	.amdhsa_kernel _ZN9rocsparseL25csrgemm_nnz_block_per_rowILj1024ELj32ELj8192ELj79EilEEvPKT4_S3_PKT3_S3_S6_S3_S6_S3_PS4_21rocsparse_index_base_S8_S8_bb
		.amdhsa_group_segment_fixed_size 0
		.amdhsa_private_segment_fixed_size 0
		.amdhsa_kernarg_size 88
		.amdhsa_user_sgpr_count 15
		.amdhsa_user_sgpr_dispatch_ptr 0
		.amdhsa_user_sgpr_queue_ptr 0
		.amdhsa_user_sgpr_kernarg_segment_ptr 1
		.amdhsa_user_sgpr_dispatch_id 0
		.amdhsa_user_sgpr_private_segment_size 0
		.amdhsa_wavefront_size32 1
		.amdhsa_uses_dynamic_stack 0
		.amdhsa_enable_private_segment 0
		.amdhsa_system_sgpr_workgroup_id_x 1
		.amdhsa_system_sgpr_workgroup_id_y 0
		.amdhsa_system_sgpr_workgroup_id_z 0
		.amdhsa_system_sgpr_workgroup_info 0
		.amdhsa_system_vgpr_workitem_id 0
		.amdhsa_next_free_vgpr 16
		.amdhsa_next_free_sgpr 29
		.amdhsa_reserve_vcc 1
		.amdhsa_float_round_mode_32 0
		.amdhsa_float_round_mode_16_64 0
		.amdhsa_float_denorm_mode_32 3
		.amdhsa_float_denorm_mode_16_64 3
		.amdhsa_dx10_clamp 1
		.amdhsa_ieee_mode 1
		.amdhsa_fp16_overflow 0
		.amdhsa_workgroup_processor_mode 1
		.amdhsa_memory_ordered 1
		.amdhsa_forward_progress 0
		.amdhsa_shared_vgpr_count 0
		.amdhsa_exception_fp_ieee_invalid_op 0
		.amdhsa_exception_fp_denorm_src 0
		.amdhsa_exception_fp_ieee_div_zero 0
		.amdhsa_exception_fp_ieee_overflow 0
		.amdhsa_exception_fp_ieee_underflow 0
		.amdhsa_exception_fp_ieee_inexact 0
		.amdhsa_exception_int_div_zero 0
	.end_amdhsa_kernel
	.section	.text._ZN9rocsparseL25csrgemm_nnz_block_per_rowILj1024ELj32ELj8192ELj79EilEEvPKT4_S3_PKT3_S3_S6_S3_S6_S3_PS4_21rocsparse_index_base_S8_S8_bb,"axG",@progbits,_ZN9rocsparseL25csrgemm_nnz_block_per_rowILj1024ELj32ELj8192ELj79EilEEvPKT4_S3_PKT3_S3_S6_S3_S6_S3_PS4_21rocsparse_index_base_S8_S8_bb,comdat
.Lfunc_end24:
	.size	_ZN9rocsparseL25csrgemm_nnz_block_per_rowILj1024ELj32ELj8192ELj79EilEEvPKT4_S3_PKT3_S3_S6_S3_S6_S3_PS4_21rocsparse_index_base_S8_S8_bb, .Lfunc_end24-_ZN9rocsparseL25csrgemm_nnz_block_per_rowILj1024ELj32ELj8192ELj79EilEEvPKT4_S3_PKT3_S3_S6_S3_S6_S3_PS4_21rocsparse_index_base_S8_S8_bb
                                        ; -- End function
	.section	.AMDGPU.csdata,"",@progbits
; Kernel info:
; codeLenInByte = 1968
; NumSgprs: 31
; NumVgprs: 16
; ScratchSize: 0
; MemoryBound: 0
; FloatMode: 240
; IeeeMode: 1
; LDSByteSize: 0 bytes/workgroup (compile time only)
; SGPRBlocks: 3
; VGPRBlocks: 1
; NumSGPRsForWavesPerEU: 31
; NumVGPRsForWavesPerEU: 16
; Occupancy: 16
; WaveLimiterHint : 1
; COMPUTE_PGM_RSRC2:SCRATCH_EN: 0
; COMPUTE_PGM_RSRC2:USER_SGPR: 15
; COMPUTE_PGM_RSRC2:TRAP_HANDLER: 0
; COMPUTE_PGM_RSRC2:TGID_X_EN: 1
; COMPUTE_PGM_RSRC2:TGID_Y_EN: 0
; COMPUTE_PGM_RSRC2:TGID_Z_EN: 0
; COMPUTE_PGM_RSRC2:TIDIG_COMP_CNT: 0
	.section	.text._ZN9rocsparseL25csrgemm_nnz_block_per_rowILj1024ELj32ELj16384ELj79EilEEvPKT4_S3_PKT3_S3_S6_S3_S6_S3_PS4_21rocsparse_index_base_S8_S8_bb,"axG",@progbits,_ZN9rocsparseL25csrgemm_nnz_block_per_rowILj1024ELj32ELj16384ELj79EilEEvPKT4_S3_PKT3_S3_S6_S3_S6_S3_PS4_21rocsparse_index_base_S8_S8_bb,comdat
	.globl	_ZN9rocsparseL25csrgemm_nnz_block_per_rowILj1024ELj32ELj16384ELj79EilEEvPKT4_S3_PKT3_S3_S6_S3_S6_S3_PS4_21rocsparse_index_base_S8_S8_bb ; -- Begin function _ZN9rocsparseL25csrgemm_nnz_block_per_rowILj1024ELj32ELj16384ELj79EilEEvPKT4_S3_PKT3_S3_S6_S3_S6_S3_PS4_21rocsparse_index_base_S8_S8_bb
	.p2align	8
	.type	_ZN9rocsparseL25csrgemm_nnz_block_per_rowILj1024ELj32ELj16384ELj79EilEEvPKT4_S3_PKT3_S3_S6_S3_S6_S3_PS4_21rocsparse_index_base_S8_S8_bb,@function
_ZN9rocsparseL25csrgemm_nnz_block_per_rowILj1024ELj32ELj16384ELj79EilEEvPKT4_S3_PKT3_S3_S6_S3_S6_S3_PS4_21rocsparse_index_base_S8_S8_bb: ; @_ZN9rocsparseL25csrgemm_nnz_block_per_rowILj1024ELj32ELj16384ELj79EilEEvPKT4_S3_PKT3_S3_S6_S3_S6_S3_PS4_21rocsparse_index_base_S8_S8_bb
; %bb.0:
	s_mov_b32 s2, s15
	s_load_b256 s[8:15], s[0:1], 0x0
	s_mov_b32 s3, 0
	s_load_b64 s[20:21], s[0:1], 0x40
	v_mov_b32_e32 v1, -1
	v_or_b32_e32 v3, 0xfffffc00, v0
	v_lshl_add_u32 v4, v0, 3, 0
	s_delay_alu instid0(VALU_DEP_3) | instskip(SKIP_4) | instid1(SALU_CYCLE_1)
	v_mov_b32_e32 v2, v1
	s_waitcnt lgkmcnt(0)
	s_load_b64 s[4:5], s[8:9], 0x0
	s_waitcnt lgkmcnt(0)
	s_lshl_b64 s[4:5], s[4:5], 3
	s_add_u32 s6, s10, s4
	s_addc_u32 s7, s11, s5
	s_lshl_b64 s[4:5], s[2:3], 3
	s_delay_alu instid0(SALU_CYCLE_1)
	s_add_u32 s16, s6, s4
	s_addc_u32 s17, s7, s5
	s_load_b256 s[4:11], s[0:1], 0x20
	s_load_b64 s[22:23], s[16:17], 0x0
.LBB25_1:                               ; =>This Inner Loop Header: Depth=1
	v_add_nc_u32_e32 v3, 0x400, v3
	ds_store_b64 v4, v[1:2]
	v_add_nc_u32_e32 v4, 0x2000, v4
	v_cmp_lt_u32_e32 vcc_lo, 0x3bff, v3
	s_or_b32 s3, vcc_lo, s3
	s_delay_alu instid0(SALU_CYCLE_1)
	s_and_not1_b32 exec_lo, exec_lo, s3
	s_cbranch_execnz .LBB25_1
; %bb.2:
	s_or_b32 exec_lo, exec_lo, s3
	s_load_b128 s[16:19], s[0:1], 0x48
	v_dual_mov_b32 v1, 0 :: v_dual_and_b32 v10, 31, v0
	v_lshrrev_b32_e32 v9, 5, v0
	v_mov_b32_e32 v2, 0
	s_waitcnt lgkmcnt(0)
	s_barrier
	buffer_gl0_inv
	s_bitcmp1_b32 s19, 0
	s_cselect_b32 s2, -1, 0
	s_delay_alu instid0(SALU_CYCLE_1)
	s_and_b32 vcc_lo, exec_lo, s2
	s_cbranch_vccz .LBB25_20
; %bb.3:
	s_lshl_b64 s[2:3], s[22:23], 2
	v_subrev_nc_u32_e32 v1, s16, v9
	s_add_u32 s2, s12, s2
	s_addc_u32 s3, s13, s3
	s_load_b64 s[2:3], s[2:3], 0x0
	s_waitcnt lgkmcnt(0)
	v_add_nc_u32_e32 v3, s2, v1
	v_mov_b32_e32 v1, 0
	v_mov_b32_e32 v2, 0
	s_sub_i32 s12, s3, s16
	s_mov_b32 s3, exec_lo
	v_cmpx_gt_i32_e64 s12, v3
	s_cbranch_execz .LBB25_19
; %bb.4:
	v_mov_b32_e32 v1, 0
	v_mov_b32_e32 v2, 0
	v_subrev_nc_u32_e32 v11, s17, v10
	s_mov_b32 s13, 0
	s_mov_b32 s19, s17
	s_branch .LBB25_7
.LBB25_5:                               ;   in Loop: Header=BB25_7 Depth=1
	s_or_b32 exec_lo, exec_lo, s25
.LBB25_6:                               ;   in Loop: Header=BB25_7 Depth=1
	s_delay_alu instid0(SALU_CYCLE_1) | instskip(SKIP_1) | instid1(VALU_DEP_1)
	s_or_b32 exec_lo, exec_lo, s24
	v_add_nc_u32_e32 v3, 32, v3
	v_cmp_le_i32_e32 vcc_lo, s12, v3
	s_or_b32 s13, vcc_lo, s13
	s_delay_alu instid0(SALU_CYCLE_1)
	s_and_not1_b32 exec_lo, exec_lo, s13
	s_cbranch_execz .LBB25_18
.LBB25_7:                               ; =>This Loop Header: Depth=1
                                        ;     Child Loop BB25_10 Depth 2
                                        ;       Child Loop BB25_13 Depth 3
	v_ashrrev_i32_e32 v4, 31, v3
	s_mov_b32 s24, exec_lo
	s_delay_alu instid0(VALU_DEP_1) | instskip(NEXT) | instid1(VALU_DEP_1)
	v_lshlrev_b64 v[4:5], 3, v[3:4]
	v_add_co_u32 v4, vcc_lo, s14, v4
	s_delay_alu instid0(VALU_DEP_2) | instskip(SKIP_4) | instid1(VALU_DEP_1)
	v_add_co_ci_u32_e32 v5, vcc_lo, s15, v5, vcc_lo
	global_load_b64 v[4:5], v[4:5], off
	s_waitcnt vmcnt(0)
	v_sub_co_u32 v4, vcc_lo, v4, s16
	v_subrev_co_ci_u32_e32 v5, vcc_lo, 0, v5, vcc_lo
	v_lshlrev_b64 v[4:5], 2, v[4:5]
	s_delay_alu instid0(VALU_DEP_1) | instskip(NEXT) | instid1(VALU_DEP_2)
	v_add_co_u32 v4, vcc_lo, s4, v4
	v_add_co_ci_u32_e32 v5, vcc_lo, s5, v5, vcc_lo
	global_load_b64 v[4:5], v[4:5], off
	s_waitcnt vmcnt(0)
	v_subrev_nc_u32_e32 v12, s17, v5
	v_add_nc_u32_e32 v4, v11, v4
	s_delay_alu instid0(VALU_DEP_1)
	v_cmpx_lt_i32_e64 v4, v12
	s_cbranch_execz .LBB25_6
; %bb.8:                                ;   in Loop: Header=BB25_7 Depth=1
	s_mov_b32 s25, 0
	s_branch .LBB25_10
.LBB25_9:                               ;   in Loop: Header=BB25_10 Depth=2
	s_or_b32 exec_lo, exec_lo, s27
	v_add_nc_u32_e32 v4, 32, v4
	v_cndmask_b32_e64 v5, 0, 1, s26
	s_delay_alu instid0(VALU_DEP_2) | instskip(NEXT) | instid1(VALU_DEP_2)
	v_cmp_ge_i32_e32 vcc_lo, v4, v12
	v_add_co_u32 v1, s2, v1, v5
	s_delay_alu instid0(VALU_DEP_1) | instskip(SKIP_1) | instid1(SALU_CYCLE_1)
	v_add_co_ci_u32_e64 v2, s2, 0, v2, s2
	s_or_b32 s25, vcc_lo, s25
	s_and_not1_b32 exec_lo, exec_lo, s25
	s_cbranch_execz .LBB25_5
.LBB25_10:                              ;   Parent Loop BB25_7 Depth=1
                                        ; =>  This Loop Header: Depth=2
                                        ;       Child Loop BB25_13 Depth 3
	v_ashrrev_i32_e32 v5, 31, v4
	s_mov_b32 s27, 0
                                        ; implicit-def: $sgpr26
                                        ; implicit-def: $sgpr28
                                        ; implicit-def: $sgpr29
                                        ; implicit-def: $sgpr30
	s_delay_alu instid0(VALU_DEP_1) | instskip(NEXT) | instid1(VALU_DEP_1)
	v_lshlrev_b64 v[5:6], 3, v[4:5]
	v_add_co_u32 v5, vcc_lo, s6, v5
	s_delay_alu instid0(VALU_DEP_2) | instskip(SKIP_4) | instid1(VALU_DEP_2)
	v_add_co_ci_u32_e32 v6, vcc_lo, s7, v6, vcc_lo
	global_load_b64 v[5:6], v[5:6], off
	s_waitcnt vmcnt(0)
	v_sub_co_u32 v5, vcc_lo, v5, s19
	v_subrev_co_ci_u32_e32 v6, vcc_lo, 0, v6, vcc_lo
	v_mul_lo_u32 v7, 0x4f, v5
	s_delay_alu instid0(VALU_DEP_1)
	v_and_b32_e32 v13, 0x3fff, v7
	s_branch .LBB25_13
.LBB25_11:                              ;   in Loop: Header=BB25_13 Depth=3
	s_or_b32 exec_lo, exec_lo, s35
	s_delay_alu instid0(SALU_CYCLE_1)
	s_and_not1_b32 s2, s29, exec_lo
	s_and_b32 s29, s34, exec_lo
	s_and_not1_b32 s28, s28, exec_lo
	s_and_b32 s30, s33, exec_lo
	s_or_b32 s29, s2, s29
	s_or_b32 s28, s28, s30
                                        ; implicit-def: $sgpr30
.LBB25_12:                              ;   in Loop: Header=BB25_13 Depth=3
	s_or_b32 exec_lo, exec_lo, s31
	s_xor_b32 s2, s28, -1
	s_delay_alu instid0(SALU_CYCLE_1) | instskip(NEXT) | instid1(SALU_CYCLE_1)
	s_and_b32 s2, exec_lo, s2
	s_or_b32 s27, s2, s27
	s_and_not1_b32 s2, s30, exec_lo
	s_and_b32 s31, s29, exec_lo
	s_and_not1_b32 s26, s26, exec_lo
	s_or_b32 s30, s2, s31
	s_or_b32 s26, s26, s31
	s_and_not1_b32 exec_lo, exec_lo, s27
	s_cbranch_execz .LBB25_9
.LBB25_13:                              ;   Parent Loop BB25_7 Depth=1
                                        ;     Parent Loop BB25_10 Depth=2
                                        ; =>    This Inner Loop Header: Depth=3
	s_delay_alu instid0(VALU_DEP_1)
	v_lshl_add_u32 v14, v13, 3, 0
	s_and_not1_b32 s29, s29, exec_lo
	s_and_not1_b32 s28, s28, exec_lo
	s_mov_b32 s31, exec_lo
	ds_load_b64 v[7:8], v14
	s_waitcnt lgkmcnt(0)
	v_cmpx_ne_u64_e64 v[7:8], v[5:6]
	s_cbranch_execz .LBB25_12
; %bb.14:                               ;   in Loop: Header=BB25_13 Depth=3
	s_mov_b32 s2, exec_lo
                                        ; implicit-def: $sgpr34
                                        ; implicit-def: $sgpr33
	v_cmpx_ne_u64_e32 -1, v[7:8]
	s_xor_b32 s2, exec_lo, s2
; %bb.15:                               ;   in Loop: Header=BB25_13 Depth=3
	v_add_nc_u32_e32 v7, 1, v13
	s_mov_b32 s33, -1
	s_and_b32 s34, s30, exec_lo
                                        ; implicit-def: $vgpr14
	s_delay_alu instid0(VALU_DEP_1)
	v_and_b32_e32 v13, 0x3fff, v7
; %bb.16:                               ;   in Loop: Header=BB25_13 Depth=3
	s_and_not1_saveexec_b32 s35, s2
	s_cbranch_execz .LBB25_11
; %bb.17:                               ;   in Loop: Header=BB25_13 Depth=3
	v_mov_b32_e32 v7, -1
	v_mov_b32_e32 v8, -1
	s_and_not1_b32 s33, s33, exec_lo
	s_and_not1_b32 s34, s34, exec_lo
	ds_cmpstore_rtn_b64 v[7:8], v14, v[5:6], v[7:8]
	s_waitcnt lgkmcnt(0)
	v_cmp_eq_u64_e32 vcc_lo, -1, v[7:8]
	v_cmp_ne_u64_e64 s2, -1, v[7:8]
	s_or_b32 s30, vcc_lo, s30
	s_delay_alu instid0(VALU_DEP_1)
	s_and_b32 s2, s2, exec_lo
	s_and_b32 s30, s30, exec_lo
	s_or_b32 s33, s33, s2
	s_or_b32 s34, s34, s30
	s_branch .LBB25_11
.LBB25_18:
	s_or_b32 exec_lo, exec_lo, s13
.LBB25_19:
	s_delay_alu instid0(SALU_CYCLE_1)
	s_or_b32 exec_lo, exec_lo, s3
.LBB25_20:
	s_load_b32 s0, s[0:1], 0x54
	s_waitcnt lgkmcnt(0)
	s_bfe_u32 s0, s0, 0x10008
	s_delay_alu instid0(SALU_CYCLE_1)
	s_cmp_eq_u32 s0, 0
	s_cbranch_scc1 .LBB25_34
; %bb.21:
	s_lshl_b64 s[0:1], s[22:23], 2
	v_subrev_nc_u32_e32 v3, s18, v9
	s_add_u32 s0, s8, s0
	s_addc_u32 s1, s9, s1
	s_load_b64 s[0:1], s[0:1], 0x0
	s_waitcnt lgkmcnt(0)
	v_add_nc_u32_e32 v3, s0, v3
	s_sub_i32 s2, s1, s18
	s_mov_b32 s1, exec_lo
	s_delay_alu instid0(VALU_DEP_1)
	v_cmpx_gt_i32_e64 s2, v3
	s_cbranch_execz .LBB25_33
; %bb.22:
	s_mov_b32 s3, 0
	s_branch .LBB25_24
.LBB25_23:                              ;   in Loop: Header=BB25_24 Depth=1
	s_or_b32 exec_lo, exec_lo, s5
	v_add_nc_u32_e32 v3, 32, v3
	v_cndmask_b32_e64 v4, 0, 1, s4
	s_delay_alu instid0(VALU_DEP_2) | instskip(NEXT) | instid1(VALU_DEP_2)
	v_cmp_le_i32_e32 vcc_lo, s2, v3
	v_add_co_u32 v1, s0, v1, v4
	s_delay_alu instid0(VALU_DEP_1) | instskip(SKIP_1) | instid1(SALU_CYCLE_1)
	v_add_co_ci_u32_e64 v2, s0, 0, v2, s0
	s_or_b32 s3, vcc_lo, s3
	s_and_not1_b32 exec_lo, exec_lo, s3
	s_cbranch_execz .LBB25_32
.LBB25_24:                              ; =>This Loop Header: Depth=1
                                        ;     Child Loop BB25_27 Depth 2
	v_ashrrev_i32_e32 v4, 31, v3
	s_mov_b32 s5, 0
                                        ; implicit-def: $sgpr4
                                        ; implicit-def: $sgpr6
                                        ; implicit-def: $sgpr7
                                        ; implicit-def: $sgpr8
	s_delay_alu instid0(VALU_DEP_1) | instskip(NEXT) | instid1(VALU_DEP_1)
	v_lshlrev_b64 v[4:5], 3, v[3:4]
	v_add_co_u32 v4, vcc_lo, s10, v4
	s_delay_alu instid0(VALU_DEP_2) | instskip(SKIP_4) | instid1(VALU_DEP_2)
	v_add_co_ci_u32_e32 v5, vcc_lo, s11, v5, vcc_lo
	global_load_b64 v[4:5], v[4:5], off
	s_waitcnt vmcnt(0)
	v_sub_co_u32 v4, vcc_lo, v4, s18
	v_subrev_co_ci_u32_e32 v5, vcc_lo, 0, v5, vcc_lo
	v_mul_lo_u32 v6, 0x4f, v4
	s_delay_alu instid0(VALU_DEP_1)
	v_and_b32_e32 v8, 0x3fff, v6
	s_branch .LBB25_27
.LBB25_25:                              ;   in Loop: Header=BB25_27 Depth=2
	s_or_b32 exec_lo, exec_lo, s14
	s_delay_alu instid0(SALU_CYCLE_1)
	s_and_not1_b32 s0, s7, exec_lo
	s_and_b32 s7, s13, exec_lo
	s_and_not1_b32 s6, s6, exec_lo
	s_and_b32 s8, s12, exec_lo
	s_or_b32 s7, s0, s7
	s_or_b32 s6, s6, s8
                                        ; implicit-def: $sgpr8
.LBB25_26:                              ;   in Loop: Header=BB25_27 Depth=2
	s_or_b32 exec_lo, exec_lo, s9
	s_xor_b32 s0, s6, -1
	s_delay_alu instid0(SALU_CYCLE_1) | instskip(NEXT) | instid1(SALU_CYCLE_1)
	s_and_b32 s0, exec_lo, s0
	s_or_b32 s5, s0, s5
	s_and_not1_b32 s0, s8, exec_lo
	s_and_b32 s9, s7, exec_lo
	s_and_not1_b32 s4, s4, exec_lo
	s_or_b32 s8, s0, s9
	s_or_b32 s4, s4, s9
	s_and_not1_b32 exec_lo, exec_lo, s5
	s_cbranch_execz .LBB25_23
.LBB25_27:                              ;   Parent Loop BB25_24 Depth=1
                                        ; =>  This Inner Loop Header: Depth=2
	s_delay_alu instid0(VALU_DEP_1)
	v_lshl_add_u32 v11, v8, 3, 0
	s_and_not1_b32 s7, s7, exec_lo
	s_and_not1_b32 s6, s6, exec_lo
	s_mov_b32 s9, exec_lo
	ds_load_b64 v[6:7], v11
	s_waitcnt lgkmcnt(0)
	v_cmpx_ne_u64_e64 v[6:7], v[4:5]
	s_cbranch_execz .LBB25_26
; %bb.28:                               ;   in Loop: Header=BB25_27 Depth=2
	s_mov_b32 s0, exec_lo
                                        ; implicit-def: $sgpr13
                                        ; implicit-def: $sgpr12
	v_cmpx_ne_u64_e32 -1, v[6:7]
	s_xor_b32 s0, exec_lo, s0
; %bb.29:                               ;   in Loop: Header=BB25_27 Depth=2
	v_add_nc_u32_e32 v6, 1, v8
	s_mov_b32 s12, -1
	s_and_b32 s13, s8, exec_lo
                                        ; implicit-def: $vgpr11
	s_delay_alu instid0(VALU_DEP_1)
	v_and_b32_e32 v8, 0x3fff, v6
; %bb.30:                               ;   in Loop: Header=BB25_27 Depth=2
	s_and_not1_saveexec_b32 s14, s0
	s_cbranch_execz .LBB25_25
; %bb.31:                               ;   in Loop: Header=BB25_27 Depth=2
	v_mov_b32_e32 v6, -1
	v_mov_b32_e32 v7, -1
	s_and_not1_b32 s12, s12, exec_lo
	s_and_not1_b32 s13, s13, exec_lo
	ds_cmpstore_rtn_b64 v[6:7], v11, v[4:5], v[6:7]
	s_waitcnt lgkmcnt(0)
	v_cmp_eq_u64_e32 vcc_lo, -1, v[6:7]
	v_cmp_ne_u64_e64 s0, -1, v[6:7]
	s_or_b32 s8, vcc_lo, s8
	s_delay_alu instid0(VALU_DEP_1)
	s_and_b32 s0, s0, exec_lo
	s_and_b32 s8, s8, exec_lo
	s_or_b32 s12, s12, s0
	s_or_b32 s13, s13, s8
	s_branch .LBB25_25
.LBB25_32:
	s_or_b32 exec_lo, exec_lo, s3
.LBB25_33:
	s_delay_alu instid0(SALU_CYCLE_1)
	s_or_b32 exec_lo, exec_lo, s1
.LBB25_34:
	v_mbcnt_lo_u32_b32 v7, -1, 0
	s_mov_b32 s0, exec_lo
	s_barrier
	buffer_gl0_inv
	v_xor_b32_e32 v3, 16, v7
	v_xor_b32_e32 v4, 8, v7
	;; [unrolled: 1-line block ×3, first 2 shown]
	s_delay_alu instid0(VALU_DEP_3) | instskip(SKIP_1) | instid1(VALU_DEP_4)
	v_cmp_gt_i32_e32 vcc_lo, 32, v3
	v_cndmask_b32_e32 v3, v7, v3, vcc_lo
	v_cmp_gt_i32_e32 vcc_lo, 32, v4
	v_cndmask_b32_e32 v4, v7, v4, vcc_lo
	s_delay_alu instid0(VALU_DEP_1) | instskip(NEXT) | instid1(VALU_DEP_4)
	v_lshlrev_b32_e32 v4, 2, v4
	v_lshlrev_b32_e32 v3, 2, v3
	ds_bpermute_b32 v5, v3, v1
	ds_bpermute_b32 v6, v3, v2
	s_waitcnt lgkmcnt(1)
	v_add_co_u32 v1, vcc_lo, v1, v5
	v_add_co_ci_u32_e32 v2, vcc_lo, 0, v2, vcc_lo
	v_xor_b32_e32 v5, 4, v7
	ds_bpermute_b32 v8, v4, v1
	v_add_co_u32 v1, vcc_lo, 0, v1
	s_waitcnt lgkmcnt(1)
	v_add_co_ci_u32_e32 v2, vcc_lo, v6, v2, vcc_lo
	v_cmp_gt_i32_e32 vcc_lo, 32, v5
	ds_bpermute_b32 v6, v4, v2
	v_cndmask_b32_e32 v5, v7, v5, vcc_lo
	s_delay_alu instid0(VALU_DEP_1)
	v_lshlrev_b32_e32 v5, 2, v5
	s_waitcnt lgkmcnt(1)
	v_add_co_u32 v1, vcc_lo, v1, v8
	v_add_co_ci_u32_e32 v2, vcc_lo, 0, v2, vcc_lo
	ds_bpermute_b32 v8, v5, v1
	v_add_co_u32 v1, vcc_lo, v1, 0
	s_waitcnt lgkmcnt(1)
	v_add_co_ci_u32_e32 v2, vcc_lo, v2, v6, vcc_lo
	v_xor_b32_e32 v6, 2, v7
	ds_bpermute_b32 v11, v5, v2
	v_cmp_gt_i32_e32 vcc_lo, 32, v6
	v_cndmask_b32_e32 v6, v7, v6, vcc_lo
	s_delay_alu instid0(VALU_DEP_1)
	v_lshlrev_b32_e32 v6, 2, v6
	s_waitcnt lgkmcnt(1)
	v_add_co_u32 v1, vcc_lo, v1, v8
	v_add_co_ci_u32_e32 v2, vcc_lo, 0, v2, vcc_lo
	ds_bpermute_b32 v8, v6, v1
	v_add_co_u32 v1, vcc_lo, v1, 0
	s_waitcnt lgkmcnt(1)
	v_add_co_ci_u32_e32 v2, vcc_lo, v2, v11, vcc_lo
	v_cmp_gt_i32_e32 vcc_lo, 32, v12
	ds_bpermute_b32 v11, v6, v2
	v_cndmask_b32_e32 v7, v7, v12, vcc_lo
	s_delay_alu instid0(VALU_DEP_1) | instskip(SKIP_3) | instid1(VALU_DEP_2)
	v_lshlrev_b32_e32 v7, 2, v7
	s_waitcnt lgkmcnt(1)
	v_add_co_u32 v1, vcc_lo, v1, v8
	v_add_co_ci_u32_e32 v8, vcc_lo, 0, v2, vcc_lo
	v_add_co_u32 v2, vcc_lo, v1, 0
	s_waitcnt lgkmcnt(0)
	s_delay_alu instid0(VALU_DEP_2)
	v_add_co_ci_u32_e32 v8, vcc_lo, v8, v11, vcc_lo
	ds_bpermute_b32 v11, v7, v1
	ds_bpermute_b32 v1, v7, v8
	v_cmpx_eq_u32_e32 31, v10
	s_cbranch_execz .LBB25_36
; %bb.35:
	s_waitcnt lgkmcnt(1)
	v_add_co_u32 v2, vcc_lo, v2, v11
	v_add_co_ci_u32_e32 v10, vcc_lo, 0, v8, vcc_lo
	v_lshl_add_u32 v11, v9, 3, 0
	s_delay_alu instid0(VALU_DEP_3) | instskip(SKIP_1) | instid1(VALU_DEP_3)
	v_add_co_u32 v8, vcc_lo, v2, 0
	s_waitcnt lgkmcnt(0)
	v_add_co_ci_u32_e32 v9, vcc_lo, v10, v1, vcc_lo
	ds_store_b64 v11, v[8:9]
.LBB25_36:
	s_or_b32 exec_lo, exec_lo, s0
	s_delay_alu instid0(SALU_CYCLE_1)
	s_mov_b32 s0, exec_lo
	s_waitcnt lgkmcnt(0)
	v_mov_b32_e32 v1, 0
	v_mov_b32_e32 v2, 0
	s_barrier
	buffer_gl0_inv
	v_cmpx_gt_u32_e32 32, v0
	s_cbranch_execz .LBB25_38
; %bb.37:
	v_lshl_add_u32 v1, v0, 3, 0
	ds_load_b64 v[1:2], v1
.LBB25_38:
	s_or_b32 exec_lo, exec_lo, s0
	s_waitcnt lgkmcnt(0)
	ds_bpermute_b32 v2, v3, v1
	s_mov_b32 s0, exec_lo
	s_waitcnt lgkmcnt(0)
	v_add_nc_u32_e32 v1, v1, v2
	ds_bpermute_b32 v2, v4, v1
	s_waitcnt lgkmcnt(0)
	v_add_nc_u32_e32 v1, v1, v2
	ds_bpermute_b32 v2, v5, v1
	;; [unrolled: 3-line block ×4, first 2 shown]
	v_cmpx_eq_u32_e32 31, v0
	s_cbranch_execz .LBB25_40
; %bb.39:
	s_lshl_b64 s[0:1], s[22:23], 2
	s_waitcnt lgkmcnt(0)
	v_dual_mov_b32 v0, 0 :: v_dual_add_nc_u32 v1, v2, v1
	s_add_u32 s0, s20, s0
	s_addc_u32 s1, s21, s1
	global_store_b32 v0, v1, s[0:1]
.LBB25_40:
	s_nop 0
	s_sendmsg sendmsg(MSG_DEALLOC_VGPRS)
	s_endpgm
	.section	.rodata,"a",@progbits
	.p2align	6, 0x0
	.amdhsa_kernel _ZN9rocsparseL25csrgemm_nnz_block_per_rowILj1024ELj32ELj16384ELj79EilEEvPKT4_S3_PKT3_S3_S6_S3_S6_S3_PS4_21rocsparse_index_base_S8_S8_bb
		.amdhsa_group_segment_fixed_size 0
		.amdhsa_private_segment_fixed_size 0
		.amdhsa_kernarg_size 88
		.amdhsa_user_sgpr_count 15
		.amdhsa_user_sgpr_dispatch_ptr 0
		.amdhsa_user_sgpr_queue_ptr 0
		.amdhsa_user_sgpr_kernarg_segment_ptr 1
		.amdhsa_user_sgpr_dispatch_id 0
		.amdhsa_user_sgpr_private_segment_size 0
		.amdhsa_wavefront_size32 1
		.amdhsa_uses_dynamic_stack 0
		.amdhsa_enable_private_segment 0
		.amdhsa_system_sgpr_workgroup_id_x 1
		.amdhsa_system_sgpr_workgroup_id_y 0
		.amdhsa_system_sgpr_workgroup_id_z 0
		.amdhsa_system_sgpr_workgroup_info 0
		.amdhsa_system_vgpr_workitem_id 0
		.amdhsa_next_free_vgpr 15
		.amdhsa_next_free_sgpr 36
		.amdhsa_reserve_vcc 1
		.amdhsa_float_round_mode_32 0
		.amdhsa_float_round_mode_16_64 0
		.amdhsa_float_denorm_mode_32 3
		.amdhsa_float_denorm_mode_16_64 3
		.amdhsa_dx10_clamp 1
		.amdhsa_ieee_mode 1
		.amdhsa_fp16_overflow 0
		.amdhsa_workgroup_processor_mode 1
		.amdhsa_memory_ordered 1
		.amdhsa_forward_progress 0
		.amdhsa_shared_vgpr_count 0
		.amdhsa_exception_fp_ieee_invalid_op 0
		.amdhsa_exception_fp_denorm_src 0
		.amdhsa_exception_fp_ieee_div_zero 0
		.amdhsa_exception_fp_ieee_overflow 0
		.amdhsa_exception_fp_ieee_underflow 0
		.amdhsa_exception_fp_ieee_inexact 0
		.amdhsa_exception_int_div_zero 0
	.end_amdhsa_kernel
	.section	.text._ZN9rocsparseL25csrgemm_nnz_block_per_rowILj1024ELj32ELj16384ELj79EilEEvPKT4_S3_PKT3_S3_S6_S3_S6_S3_PS4_21rocsparse_index_base_S8_S8_bb,"axG",@progbits,_ZN9rocsparseL25csrgemm_nnz_block_per_rowILj1024ELj32ELj16384ELj79EilEEvPKT4_S3_PKT3_S3_S6_S3_S6_S3_PS4_21rocsparse_index_base_S8_S8_bb,comdat
.Lfunc_end25:
	.size	_ZN9rocsparseL25csrgemm_nnz_block_per_rowILj1024ELj32ELj16384ELj79EilEEvPKT4_S3_PKT3_S3_S6_S3_S6_S3_PS4_21rocsparse_index_base_S8_S8_bb, .Lfunc_end25-_ZN9rocsparseL25csrgemm_nnz_block_per_rowILj1024ELj32ELj16384ELj79EilEEvPKT4_S3_PKT3_S3_S6_S3_S6_S3_PS4_21rocsparse_index_base_S8_S8_bb
                                        ; -- End function
	.section	.AMDGPU.csdata,"",@progbits
; Kernel info:
; codeLenInByte = 1952
; NumSgprs: 38
; NumVgprs: 15
; ScratchSize: 0
; MemoryBound: 0
; FloatMode: 240
; IeeeMode: 1
; LDSByteSize: 0 bytes/workgroup (compile time only)
; SGPRBlocks: 4
; VGPRBlocks: 1
; NumSGPRsForWavesPerEU: 38
; NumVGPRsForWavesPerEU: 15
; Occupancy: 16
; WaveLimiterHint : 1
; COMPUTE_PGM_RSRC2:SCRATCH_EN: 0
; COMPUTE_PGM_RSRC2:USER_SGPR: 15
; COMPUTE_PGM_RSRC2:TRAP_HANDLER: 0
; COMPUTE_PGM_RSRC2:TGID_X_EN: 1
; COMPUTE_PGM_RSRC2:TGID_Y_EN: 0
; COMPUTE_PGM_RSRC2:TGID_Z_EN: 0
; COMPUTE_PGM_RSRC2:TIDIG_COMP_CNT: 0
	.section	.text._ZN9rocsparseL25csrgemm_nnz_block_per_rowILj1024ELj32ELj32768ELj79EilEEvPKT4_S3_PKT3_S3_S6_S3_S6_S3_PS4_21rocsparse_index_base_S8_S8_bb,"axG",@progbits,_ZN9rocsparseL25csrgemm_nnz_block_per_rowILj1024ELj32ELj32768ELj79EilEEvPKT4_S3_PKT3_S3_S6_S3_S6_S3_PS4_21rocsparse_index_base_S8_S8_bb,comdat
	.globl	_ZN9rocsparseL25csrgemm_nnz_block_per_rowILj1024ELj32ELj32768ELj79EilEEvPKT4_S3_PKT3_S3_S6_S3_S6_S3_PS4_21rocsparse_index_base_S8_S8_bb ; -- Begin function _ZN9rocsparseL25csrgemm_nnz_block_per_rowILj1024ELj32ELj32768ELj79EilEEvPKT4_S3_PKT3_S3_S6_S3_S6_S3_PS4_21rocsparse_index_base_S8_S8_bb
	.p2align	8
	.type	_ZN9rocsparseL25csrgemm_nnz_block_per_rowILj1024ELj32ELj32768ELj79EilEEvPKT4_S3_PKT3_S3_S6_S3_S6_S3_PS4_21rocsparse_index_base_S8_S8_bb,@function
_ZN9rocsparseL25csrgemm_nnz_block_per_rowILj1024ELj32ELj32768ELj79EilEEvPKT4_S3_PKT3_S3_S6_S3_S6_S3_PS4_21rocsparse_index_base_S8_S8_bb: ; @_ZN9rocsparseL25csrgemm_nnz_block_per_rowILj1024ELj32ELj32768ELj79EilEEvPKT4_S3_PKT3_S3_S6_S3_S6_S3_PS4_21rocsparse_index_base_S8_S8_bb
; %bb.0:
	s_mov_b32 s2, s15
	s_load_b256 s[8:15], s[0:1], 0x0
	s_mov_b32 s3, 0
	s_load_b64 s[20:21], s[0:1], 0x40
	v_mov_b32_e32 v1, -1
	v_or_b32_e32 v3, 0xfffffc00, v0
	v_lshl_add_u32 v4, v0, 3, 0
	s_delay_alu instid0(VALU_DEP_3) | instskip(SKIP_4) | instid1(SALU_CYCLE_1)
	v_mov_b32_e32 v2, v1
	s_waitcnt lgkmcnt(0)
	s_load_b64 s[4:5], s[8:9], 0x0
	s_waitcnt lgkmcnt(0)
	s_lshl_b64 s[4:5], s[4:5], 3
	s_add_u32 s6, s10, s4
	s_addc_u32 s7, s11, s5
	s_lshl_b64 s[4:5], s[2:3], 3
	s_delay_alu instid0(SALU_CYCLE_1)
	s_add_u32 s16, s6, s4
	s_addc_u32 s17, s7, s5
	s_load_b256 s[4:11], s[0:1], 0x20
	s_load_b64 s[22:23], s[16:17], 0x0
.LBB26_1:                               ; =>This Inner Loop Header: Depth=1
	v_add_nc_u32_e32 v3, 0x400, v3
	ds_store_b64 v4, v[1:2]
	v_add_nc_u32_e32 v4, 0x2000, v4
	v_cmp_lt_u32_e32 vcc_lo, 0x7bff, v3
	s_or_b32 s3, vcc_lo, s3
	s_delay_alu instid0(SALU_CYCLE_1)
	s_and_not1_b32 exec_lo, exec_lo, s3
	s_cbranch_execnz .LBB26_1
; %bb.2:
	s_or_b32 exec_lo, exec_lo, s3
	s_load_b128 s[16:19], s[0:1], 0x48
	v_dual_mov_b32 v1, 0 :: v_dual_and_b32 v10, 31, v0
	v_lshrrev_b32_e32 v9, 5, v0
	v_mov_b32_e32 v2, 0
	s_waitcnt lgkmcnt(0)
	s_barrier
	buffer_gl0_inv
	s_bitcmp1_b32 s19, 0
	s_cselect_b32 s2, -1, 0
	s_delay_alu instid0(SALU_CYCLE_1)
	s_and_b32 vcc_lo, exec_lo, s2
	s_cbranch_vccz .LBB26_20
; %bb.3:
	s_lshl_b64 s[2:3], s[22:23], 2
	v_subrev_nc_u32_e32 v1, s16, v9
	s_add_u32 s2, s12, s2
	s_addc_u32 s3, s13, s3
	s_load_b64 s[2:3], s[2:3], 0x0
	s_waitcnt lgkmcnt(0)
	v_add_nc_u32_e32 v3, s2, v1
	v_mov_b32_e32 v1, 0
	v_mov_b32_e32 v2, 0
	s_sub_i32 s12, s3, s16
	s_mov_b32 s3, exec_lo
	v_cmpx_gt_i32_e64 s12, v3
	s_cbranch_execz .LBB26_19
; %bb.4:
	v_mov_b32_e32 v1, 0
	v_mov_b32_e32 v2, 0
	v_subrev_nc_u32_e32 v11, s17, v10
	s_mov_b32 s13, 0
	s_mov_b32 s19, s17
	s_branch .LBB26_7
.LBB26_5:                               ;   in Loop: Header=BB26_7 Depth=1
	s_or_b32 exec_lo, exec_lo, s25
.LBB26_6:                               ;   in Loop: Header=BB26_7 Depth=1
	s_delay_alu instid0(SALU_CYCLE_1) | instskip(SKIP_1) | instid1(VALU_DEP_1)
	s_or_b32 exec_lo, exec_lo, s24
	v_add_nc_u32_e32 v3, 32, v3
	v_cmp_le_i32_e32 vcc_lo, s12, v3
	s_or_b32 s13, vcc_lo, s13
	s_delay_alu instid0(SALU_CYCLE_1)
	s_and_not1_b32 exec_lo, exec_lo, s13
	s_cbranch_execz .LBB26_18
.LBB26_7:                               ; =>This Loop Header: Depth=1
                                        ;     Child Loop BB26_10 Depth 2
                                        ;       Child Loop BB26_13 Depth 3
	v_ashrrev_i32_e32 v4, 31, v3
	s_mov_b32 s24, exec_lo
	s_delay_alu instid0(VALU_DEP_1) | instskip(NEXT) | instid1(VALU_DEP_1)
	v_lshlrev_b64 v[4:5], 3, v[3:4]
	v_add_co_u32 v4, vcc_lo, s14, v4
	s_delay_alu instid0(VALU_DEP_2) | instskip(SKIP_4) | instid1(VALU_DEP_1)
	v_add_co_ci_u32_e32 v5, vcc_lo, s15, v5, vcc_lo
	global_load_b64 v[4:5], v[4:5], off
	s_waitcnt vmcnt(0)
	v_sub_co_u32 v4, vcc_lo, v4, s16
	v_subrev_co_ci_u32_e32 v5, vcc_lo, 0, v5, vcc_lo
	v_lshlrev_b64 v[4:5], 2, v[4:5]
	s_delay_alu instid0(VALU_DEP_1) | instskip(NEXT) | instid1(VALU_DEP_2)
	v_add_co_u32 v4, vcc_lo, s4, v4
	v_add_co_ci_u32_e32 v5, vcc_lo, s5, v5, vcc_lo
	global_load_b64 v[4:5], v[4:5], off
	s_waitcnt vmcnt(0)
	v_subrev_nc_u32_e32 v12, s17, v5
	v_add_nc_u32_e32 v4, v11, v4
	s_delay_alu instid0(VALU_DEP_1)
	v_cmpx_lt_i32_e64 v4, v12
	s_cbranch_execz .LBB26_6
; %bb.8:                                ;   in Loop: Header=BB26_7 Depth=1
	s_mov_b32 s25, 0
	s_branch .LBB26_10
.LBB26_9:                               ;   in Loop: Header=BB26_10 Depth=2
	s_or_b32 exec_lo, exec_lo, s27
	v_add_nc_u32_e32 v4, 32, v4
	v_cndmask_b32_e64 v5, 0, 1, s26
	s_delay_alu instid0(VALU_DEP_2) | instskip(NEXT) | instid1(VALU_DEP_2)
	v_cmp_ge_i32_e32 vcc_lo, v4, v12
	v_add_co_u32 v1, s2, v1, v5
	s_delay_alu instid0(VALU_DEP_1) | instskip(SKIP_1) | instid1(SALU_CYCLE_1)
	v_add_co_ci_u32_e64 v2, s2, 0, v2, s2
	s_or_b32 s25, vcc_lo, s25
	s_and_not1_b32 exec_lo, exec_lo, s25
	s_cbranch_execz .LBB26_5
.LBB26_10:                              ;   Parent Loop BB26_7 Depth=1
                                        ; =>  This Loop Header: Depth=2
                                        ;       Child Loop BB26_13 Depth 3
	v_ashrrev_i32_e32 v5, 31, v4
	s_mov_b32 s27, 0
                                        ; implicit-def: $sgpr26
                                        ; implicit-def: $sgpr28
                                        ; implicit-def: $sgpr29
                                        ; implicit-def: $sgpr30
	s_delay_alu instid0(VALU_DEP_1) | instskip(NEXT) | instid1(VALU_DEP_1)
	v_lshlrev_b64 v[5:6], 3, v[4:5]
	v_add_co_u32 v5, vcc_lo, s6, v5
	s_delay_alu instid0(VALU_DEP_2) | instskip(SKIP_4) | instid1(VALU_DEP_2)
	v_add_co_ci_u32_e32 v6, vcc_lo, s7, v6, vcc_lo
	global_load_b64 v[5:6], v[5:6], off
	s_waitcnt vmcnt(0)
	v_sub_co_u32 v5, vcc_lo, v5, s19
	v_subrev_co_ci_u32_e32 v6, vcc_lo, 0, v6, vcc_lo
	v_mul_lo_u32 v7, 0x4f, v5
	s_delay_alu instid0(VALU_DEP_1)
	v_and_b32_e32 v13, 0x7fff, v7
	s_branch .LBB26_13
.LBB26_11:                              ;   in Loop: Header=BB26_13 Depth=3
	s_or_b32 exec_lo, exec_lo, s35
	s_delay_alu instid0(SALU_CYCLE_1)
	s_and_not1_b32 s2, s29, exec_lo
	s_and_b32 s29, s34, exec_lo
	s_and_not1_b32 s28, s28, exec_lo
	s_and_b32 s30, s33, exec_lo
	s_or_b32 s29, s2, s29
	s_or_b32 s28, s28, s30
                                        ; implicit-def: $sgpr30
.LBB26_12:                              ;   in Loop: Header=BB26_13 Depth=3
	s_or_b32 exec_lo, exec_lo, s31
	s_xor_b32 s2, s28, -1
	s_delay_alu instid0(SALU_CYCLE_1) | instskip(NEXT) | instid1(SALU_CYCLE_1)
	s_and_b32 s2, exec_lo, s2
	s_or_b32 s27, s2, s27
	s_and_not1_b32 s2, s30, exec_lo
	s_and_b32 s31, s29, exec_lo
	s_and_not1_b32 s26, s26, exec_lo
	s_or_b32 s30, s2, s31
	s_or_b32 s26, s26, s31
	s_and_not1_b32 exec_lo, exec_lo, s27
	s_cbranch_execz .LBB26_9
.LBB26_13:                              ;   Parent Loop BB26_7 Depth=1
                                        ;     Parent Loop BB26_10 Depth=2
                                        ; =>    This Inner Loop Header: Depth=3
	s_delay_alu instid0(VALU_DEP_1)
	v_lshl_add_u32 v14, v13, 3, 0
	s_and_not1_b32 s29, s29, exec_lo
	s_and_not1_b32 s28, s28, exec_lo
	s_mov_b32 s31, exec_lo
	ds_load_b64 v[7:8], v14
	s_waitcnt lgkmcnt(0)
	v_cmpx_ne_u64_e64 v[7:8], v[5:6]
	s_cbranch_execz .LBB26_12
; %bb.14:                               ;   in Loop: Header=BB26_13 Depth=3
	s_mov_b32 s2, exec_lo
                                        ; implicit-def: $sgpr34
                                        ; implicit-def: $sgpr33
	v_cmpx_ne_u64_e32 -1, v[7:8]
	s_xor_b32 s2, exec_lo, s2
; %bb.15:                               ;   in Loop: Header=BB26_13 Depth=3
	v_add_nc_u32_e32 v7, 1, v13
	s_mov_b32 s33, -1
	s_and_b32 s34, s30, exec_lo
                                        ; implicit-def: $vgpr14
	s_delay_alu instid0(VALU_DEP_1)
	v_and_b32_e32 v13, 0x7fff, v7
; %bb.16:                               ;   in Loop: Header=BB26_13 Depth=3
	s_and_not1_saveexec_b32 s35, s2
	s_cbranch_execz .LBB26_11
; %bb.17:                               ;   in Loop: Header=BB26_13 Depth=3
	v_mov_b32_e32 v7, -1
	v_mov_b32_e32 v8, -1
	s_and_not1_b32 s33, s33, exec_lo
	s_and_not1_b32 s34, s34, exec_lo
	ds_cmpstore_rtn_b64 v[7:8], v14, v[5:6], v[7:8]
	s_waitcnt lgkmcnt(0)
	v_cmp_eq_u64_e32 vcc_lo, -1, v[7:8]
	v_cmp_ne_u64_e64 s2, -1, v[7:8]
	s_or_b32 s30, vcc_lo, s30
	s_delay_alu instid0(VALU_DEP_1)
	s_and_b32 s2, s2, exec_lo
	s_and_b32 s30, s30, exec_lo
	s_or_b32 s33, s33, s2
	s_or_b32 s34, s34, s30
	s_branch .LBB26_11
.LBB26_18:
	s_or_b32 exec_lo, exec_lo, s13
.LBB26_19:
	s_delay_alu instid0(SALU_CYCLE_1)
	s_or_b32 exec_lo, exec_lo, s3
.LBB26_20:
	s_load_b32 s0, s[0:1], 0x54
	s_waitcnt lgkmcnt(0)
	s_bfe_u32 s0, s0, 0x10008
	s_delay_alu instid0(SALU_CYCLE_1)
	s_cmp_eq_u32 s0, 0
	s_cbranch_scc1 .LBB26_34
; %bb.21:
	s_lshl_b64 s[0:1], s[22:23], 2
	v_subrev_nc_u32_e32 v3, s18, v9
	s_add_u32 s0, s8, s0
	s_addc_u32 s1, s9, s1
	s_load_b64 s[0:1], s[0:1], 0x0
	s_waitcnt lgkmcnt(0)
	v_add_nc_u32_e32 v3, s0, v3
	s_sub_i32 s2, s1, s18
	s_mov_b32 s1, exec_lo
	s_delay_alu instid0(VALU_DEP_1)
	v_cmpx_gt_i32_e64 s2, v3
	s_cbranch_execz .LBB26_33
; %bb.22:
	s_mov_b32 s3, 0
	s_branch .LBB26_24
.LBB26_23:                              ;   in Loop: Header=BB26_24 Depth=1
	s_or_b32 exec_lo, exec_lo, s5
	v_add_nc_u32_e32 v3, 32, v3
	v_cndmask_b32_e64 v4, 0, 1, s4
	s_delay_alu instid0(VALU_DEP_2) | instskip(NEXT) | instid1(VALU_DEP_2)
	v_cmp_le_i32_e32 vcc_lo, s2, v3
	v_add_co_u32 v1, s0, v1, v4
	s_delay_alu instid0(VALU_DEP_1) | instskip(SKIP_1) | instid1(SALU_CYCLE_1)
	v_add_co_ci_u32_e64 v2, s0, 0, v2, s0
	s_or_b32 s3, vcc_lo, s3
	s_and_not1_b32 exec_lo, exec_lo, s3
	s_cbranch_execz .LBB26_32
.LBB26_24:                              ; =>This Loop Header: Depth=1
                                        ;     Child Loop BB26_27 Depth 2
	v_ashrrev_i32_e32 v4, 31, v3
	s_mov_b32 s5, 0
                                        ; implicit-def: $sgpr4
                                        ; implicit-def: $sgpr6
                                        ; implicit-def: $sgpr7
                                        ; implicit-def: $sgpr8
	s_delay_alu instid0(VALU_DEP_1) | instskip(NEXT) | instid1(VALU_DEP_1)
	v_lshlrev_b64 v[4:5], 3, v[3:4]
	v_add_co_u32 v4, vcc_lo, s10, v4
	s_delay_alu instid0(VALU_DEP_2) | instskip(SKIP_4) | instid1(VALU_DEP_2)
	v_add_co_ci_u32_e32 v5, vcc_lo, s11, v5, vcc_lo
	global_load_b64 v[4:5], v[4:5], off
	s_waitcnt vmcnt(0)
	v_sub_co_u32 v4, vcc_lo, v4, s18
	v_subrev_co_ci_u32_e32 v5, vcc_lo, 0, v5, vcc_lo
	v_mul_lo_u32 v6, 0x4f, v4
	s_delay_alu instid0(VALU_DEP_1)
	v_and_b32_e32 v8, 0x7fff, v6
	s_branch .LBB26_27
.LBB26_25:                              ;   in Loop: Header=BB26_27 Depth=2
	s_or_b32 exec_lo, exec_lo, s14
	s_delay_alu instid0(SALU_CYCLE_1)
	s_and_not1_b32 s0, s7, exec_lo
	s_and_b32 s7, s13, exec_lo
	s_and_not1_b32 s6, s6, exec_lo
	s_and_b32 s8, s12, exec_lo
	s_or_b32 s7, s0, s7
	s_or_b32 s6, s6, s8
                                        ; implicit-def: $sgpr8
.LBB26_26:                              ;   in Loop: Header=BB26_27 Depth=2
	s_or_b32 exec_lo, exec_lo, s9
	s_xor_b32 s0, s6, -1
	s_delay_alu instid0(SALU_CYCLE_1) | instskip(NEXT) | instid1(SALU_CYCLE_1)
	s_and_b32 s0, exec_lo, s0
	s_or_b32 s5, s0, s5
	s_and_not1_b32 s0, s8, exec_lo
	s_and_b32 s9, s7, exec_lo
	s_and_not1_b32 s4, s4, exec_lo
	s_or_b32 s8, s0, s9
	s_or_b32 s4, s4, s9
	s_and_not1_b32 exec_lo, exec_lo, s5
	s_cbranch_execz .LBB26_23
.LBB26_27:                              ;   Parent Loop BB26_24 Depth=1
                                        ; =>  This Inner Loop Header: Depth=2
	s_delay_alu instid0(VALU_DEP_1)
	v_lshl_add_u32 v11, v8, 3, 0
	s_and_not1_b32 s7, s7, exec_lo
	s_and_not1_b32 s6, s6, exec_lo
	s_mov_b32 s9, exec_lo
	ds_load_b64 v[6:7], v11
	s_waitcnt lgkmcnt(0)
	v_cmpx_ne_u64_e64 v[6:7], v[4:5]
	s_cbranch_execz .LBB26_26
; %bb.28:                               ;   in Loop: Header=BB26_27 Depth=2
	s_mov_b32 s0, exec_lo
                                        ; implicit-def: $sgpr13
                                        ; implicit-def: $sgpr12
	v_cmpx_ne_u64_e32 -1, v[6:7]
	s_xor_b32 s0, exec_lo, s0
; %bb.29:                               ;   in Loop: Header=BB26_27 Depth=2
	v_add_nc_u32_e32 v6, 1, v8
	s_mov_b32 s12, -1
	s_and_b32 s13, s8, exec_lo
                                        ; implicit-def: $vgpr11
	s_delay_alu instid0(VALU_DEP_1)
	v_and_b32_e32 v8, 0x7fff, v6
; %bb.30:                               ;   in Loop: Header=BB26_27 Depth=2
	s_and_not1_saveexec_b32 s14, s0
	s_cbranch_execz .LBB26_25
; %bb.31:                               ;   in Loop: Header=BB26_27 Depth=2
	v_mov_b32_e32 v6, -1
	v_mov_b32_e32 v7, -1
	s_and_not1_b32 s12, s12, exec_lo
	s_and_not1_b32 s13, s13, exec_lo
	ds_cmpstore_rtn_b64 v[6:7], v11, v[4:5], v[6:7]
	s_waitcnt lgkmcnt(0)
	v_cmp_eq_u64_e32 vcc_lo, -1, v[6:7]
	v_cmp_ne_u64_e64 s0, -1, v[6:7]
	s_or_b32 s8, vcc_lo, s8
	s_delay_alu instid0(VALU_DEP_1)
	s_and_b32 s0, s0, exec_lo
	s_and_b32 s8, s8, exec_lo
	s_or_b32 s12, s12, s0
	s_or_b32 s13, s13, s8
	s_branch .LBB26_25
.LBB26_32:
	s_or_b32 exec_lo, exec_lo, s3
.LBB26_33:
	s_delay_alu instid0(SALU_CYCLE_1)
	s_or_b32 exec_lo, exec_lo, s1
.LBB26_34:
	v_mbcnt_lo_u32_b32 v7, -1, 0
	s_mov_b32 s0, exec_lo
	s_barrier
	buffer_gl0_inv
	v_xor_b32_e32 v3, 16, v7
	v_xor_b32_e32 v4, 8, v7
	;; [unrolled: 1-line block ×3, first 2 shown]
	s_delay_alu instid0(VALU_DEP_3) | instskip(SKIP_1) | instid1(VALU_DEP_4)
	v_cmp_gt_i32_e32 vcc_lo, 32, v3
	v_cndmask_b32_e32 v3, v7, v3, vcc_lo
	v_cmp_gt_i32_e32 vcc_lo, 32, v4
	v_cndmask_b32_e32 v4, v7, v4, vcc_lo
	s_delay_alu instid0(VALU_DEP_1) | instskip(NEXT) | instid1(VALU_DEP_4)
	v_lshlrev_b32_e32 v4, 2, v4
	v_lshlrev_b32_e32 v3, 2, v3
	ds_bpermute_b32 v5, v3, v1
	ds_bpermute_b32 v6, v3, v2
	s_waitcnt lgkmcnt(1)
	v_add_co_u32 v1, vcc_lo, v1, v5
	v_add_co_ci_u32_e32 v2, vcc_lo, 0, v2, vcc_lo
	v_xor_b32_e32 v5, 4, v7
	ds_bpermute_b32 v8, v4, v1
	v_add_co_u32 v1, vcc_lo, 0, v1
	s_waitcnt lgkmcnt(1)
	v_add_co_ci_u32_e32 v2, vcc_lo, v6, v2, vcc_lo
	v_cmp_gt_i32_e32 vcc_lo, 32, v5
	ds_bpermute_b32 v6, v4, v2
	v_cndmask_b32_e32 v5, v7, v5, vcc_lo
	s_delay_alu instid0(VALU_DEP_1)
	v_lshlrev_b32_e32 v5, 2, v5
	s_waitcnt lgkmcnt(1)
	v_add_co_u32 v1, vcc_lo, v1, v8
	v_add_co_ci_u32_e32 v2, vcc_lo, 0, v2, vcc_lo
	ds_bpermute_b32 v8, v5, v1
	v_add_co_u32 v1, vcc_lo, v1, 0
	s_waitcnt lgkmcnt(1)
	v_add_co_ci_u32_e32 v2, vcc_lo, v2, v6, vcc_lo
	v_xor_b32_e32 v6, 2, v7
	ds_bpermute_b32 v11, v5, v2
	v_cmp_gt_i32_e32 vcc_lo, 32, v6
	v_cndmask_b32_e32 v6, v7, v6, vcc_lo
	s_delay_alu instid0(VALU_DEP_1)
	v_lshlrev_b32_e32 v6, 2, v6
	s_waitcnt lgkmcnt(1)
	v_add_co_u32 v1, vcc_lo, v1, v8
	v_add_co_ci_u32_e32 v2, vcc_lo, 0, v2, vcc_lo
	ds_bpermute_b32 v8, v6, v1
	v_add_co_u32 v1, vcc_lo, v1, 0
	s_waitcnt lgkmcnt(1)
	v_add_co_ci_u32_e32 v2, vcc_lo, v2, v11, vcc_lo
	v_cmp_gt_i32_e32 vcc_lo, 32, v12
	ds_bpermute_b32 v11, v6, v2
	v_cndmask_b32_e32 v7, v7, v12, vcc_lo
	s_delay_alu instid0(VALU_DEP_1) | instskip(SKIP_3) | instid1(VALU_DEP_2)
	v_lshlrev_b32_e32 v7, 2, v7
	s_waitcnt lgkmcnt(1)
	v_add_co_u32 v1, vcc_lo, v1, v8
	v_add_co_ci_u32_e32 v8, vcc_lo, 0, v2, vcc_lo
	v_add_co_u32 v2, vcc_lo, v1, 0
	s_waitcnt lgkmcnt(0)
	s_delay_alu instid0(VALU_DEP_2)
	v_add_co_ci_u32_e32 v8, vcc_lo, v8, v11, vcc_lo
	ds_bpermute_b32 v11, v7, v1
	ds_bpermute_b32 v1, v7, v8
	v_cmpx_eq_u32_e32 31, v10
	s_cbranch_execz .LBB26_36
; %bb.35:
	s_waitcnt lgkmcnt(1)
	v_add_co_u32 v2, vcc_lo, v2, v11
	v_add_co_ci_u32_e32 v10, vcc_lo, 0, v8, vcc_lo
	v_lshl_add_u32 v11, v9, 3, 0
	s_delay_alu instid0(VALU_DEP_3) | instskip(SKIP_1) | instid1(VALU_DEP_3)
	v_add_co_u32 v8, vcc_lo, v2, 0
	s_waitcnt lgkmcnt(0)
	v_add_co_ci_u32_e32 v9, vcc_lo, v10, v1, vcc_lo
	ds_store_b64 v11, v[8:9]
.LBB26_36:
	s_or_b32 exec_lo, exec_lo, s0
	s_delay_alu instid0(SALU_CYCLE_1)
	s_mov_b32 s0, exec_lo
	s_waitcnt lgkmcnt(0)
	v_mov_b32_e32 v1, 0
	v_mov_b32_e32 v2, 0
	s_barrier
	buffer_gl0_inv
	v_cmpx_gt_u32_e32 32, v0
	s_cbranch_execz .LBB26_38
; %bb.37:
	v_lshl_add_u32 v1, v0, 3, 0
	ds_load_b64 v[1:2], v1
.LBB26_38:
	s_or_b32 exec_lo, exec_lo, s0
	s_waitcnt lgkmcnt(0)
	ds_bpermute_b32 v2, v3, v1
	s_mov_b32 s0, exec_lo
	s_waitcnt lgkmcnt(0)
	v_add_nc_u32_e32 v1, v1, v2
	ds_bpermute_b32 v2, v4, v1
	s_waitcnt lgkmcnt(0)
	v_add_nc_u32_e32 v1, v1, v2
	ds_bpermute_b32 v2, v5, v1
	;; [unrolled: 3-line block ×4, first 2 shown]
	v_cmpx_eq_u32_e32 31, v0
	s_cbranch_execz .LBB26_40
; %bb.39:
	s_lshl_b64 s[0:1], s[22:23], 2
	s_waitcnt lgkmcnt(0)
	v_dual_mov_b32 v0, 0 :: v_dual_add_nc_u32 v1, v2, v1
	s_add_u32 s0, s20, s0
	s_addc_u32 s1, s21, s1
	global_store_b32 v0, v1, s[0:1]
.LBB26_40:
	s_nop 0
	s_sendmsg sendmsg(MSG_DEALLOC_VGPRS)
	s_endpgm
	.section	.rodata,"a",@progbits
	.p2align	6, 0x0
	.amdhsa_kernel _ZN9rocsparseL25csrgemm_nnz_block_per_rowILj1024ELj32ELj32768ELj79EilEEvPKT4_S3_PKT3_S3_S6_S3_S6_S3_PS4_21rocsparse_index_base_S8_S8_bb
		.amdhsa_group_segment_fixed_size 0
		.amdhsa_private_segment_fixed_size 0
		.amdhsa_kernarg_size 88
		.amdhsa_user_sgpr_count 15
		.amdhsa_user_sgpr_dispatch_ptr 0
		.amdhsa_user_sgpr_queue_ptr 0
		.amdhsa_user_sgpr_kernarg_segment_ptr 1
		.amdhsa_user_sgpr_dispatch_id 0
		.amdhsa_user_sgpr_private_segment_size 0
		.amdhsa_wavefront_size32 1
		.amdhsa_uses_dynamic_stack 0
		.amdhsa_enable_private_segment 0
		.amdhsa_system_sgpr_workgroup_id_x 1
		.amdhsa_system_sgpr_workgroup_id_y 0
		.amdhsa_system_sgpr_workgroup_id_z 0
		.amdhsa_system_sgpr_workgroup_info 0
		.amdhsa_system_vgpr_workitem_id 0
		.amdhsa_next_free_vgpr 15
		.amdhsa_next_free_sgpr 36
		.amdhsa_reserve_vcc 1
		.amdhsa_float_round_mode_32 0
		.amdhsa_float_round_mode_16_64 0
		.amdhsa_float_denorm_mode_32 3
		.amdhsa_float_denorm_mode_16_64 3
		.amdhsa_dx10_clamp 1
		.amdhsa_ieee_mode 1
		.amdhsa_fp16_overflow 0
		.amdhsa_workgroup_processor_mode 1
		.amdhsa_memory_ordered 1
		.amdhsa_forward_progress 0
		.amdhsa_shared_vgpr_count 0
		.amdhsa_exception_fp_ieee_invalid_op 0
		.amdhsa_exception_fp_denorm_src 0
		.amdhsa_exception_fp_ieee_div_zero 0
		.amdhsa_exception_fp_ieee_overflow 0
		.amdhsa_exception_fp_ieee_underflow 0
		.amdhsa_exception_fp_ieee_inexact 0
		.amdhsa_exception_int_div_zero 0
	.end_amdhsa_kernel
	.section	.text._ZN9rocsparseL25csrgemm_nnz_block_per_rowILj1024ELj32ELj32768ELj79EilEEvPKT4_S3_PKT3_S3_S6_S3_S6_S3_PS4_21rocsparse_index_base_S8_S8_bb,"axG",@progbits,_ZN9rocsparseL25csrgemm_nnz_block_per_rowILj1024ELj32ELj32768ELj79EilEEvPKT4_S3_PKT3_S3_S6_S3_S6_S3_PS4_21rocsparse_index_base_S8_S8_bb,comdat
.Lfunc_end26:
	.size	_ZN9rocsparseL25csrgemm_nnz_block_per_rowILj1024ELj32ELj32768ELj79EilEEvPKT4_S3_PKT3_S3_S6_S3_S6_S3_PS4_21rocsparse_index_base_S8_S8_bb, .Lfunc_end26-_ZN9rocsparseL25csrgemm_nnz_block_per_rowILj1024ELj32ELj32768ELj79EilEEvPKT4_S3_PKT3_S3_S6_S3_S6_S3_PS4_21rocsparse_index_base_S8_S8_bb
                                        ; -- End function
	.section	.AMDGPU.csdata,"",@progbits
; Kernel info:
; codeLenInByte = 1952
; NumSgprs: 38
; NumVgprs: 15
; ScratchSize: 0
; MemoryBound: 0
; FloatMode: 240
; IeeeMode: 1
; LDSByteSize: 0 bytes/workgroup (compile time only)
; SGPRBlocks: 4
; VGPRBlocks: 1
; NumSGPRsForWavesPerEU: 38
; NumVGPRsForWavesPerEU: 15
; Occupancy: 16
; WaveLimiterHint : 1
; COMPUTE_PGM_RSRC2:SCRATCH_EN: 0
; COMPUTE_PGM_RSRC2:USER_SGPR: 15
; COMPUTE_PGM_RSRC2:TRAP_HANDLER: 0
; COMPUTE_PGM_RSRC2:TGID_X_EN: 1
; COMPUTE_PGM_RSRC2:TGID_Y_EN: 0
; COMPUTE_PGM_RSRC2:TGID_Z_EN: 0
; COMPUTE_PGM_RSRC2:TIDIG_COMP_CNT: 0
	.section	.text._ZN9rocsparseL25csrgemm_nnz_block_per_rowILj1024ELj32ELj65536ELj79EilEEvPKT4_S3_PKT3_S3_S6_S3_S6_S3_PS4_21rocsparse_index_base_S8_S8_bb,"axG",@progbits,_ZN9rocsparseL25csrgemm_nnz_block_per_rowILj1024ELj32ELj65536ELj79EilEEvPKT4_S3_PKT3_S3_S6_S3_S6_S3_PS4_21rocsparse_index_base_S8_S8_bb,comdat
	.globl	_ZN9rocsparseL25csrgemm_nnz_block_per_rowILj1024ELj32ELj65536ELj79EilEEvPKT4_S3_PKT3_S3_S6_S3_S6_S3_PS4_21rocsparse_index_base_S8_S8_bb ; -- Begin function _ZN9rocsparseL25csrgemm_nnz_block_per_rowILj1024ELj32ELj65536ELj79EilEEvPKT4_S3_PKT3_S3_S6_S3_S6_S3_PS4_21rocsparse_index_base_S8_S8_bb
	.p2align	8
	.type	_ZN9rocsparseL25csrgemm_nnz_block_per_rowILj1024ELj32ELj65536ELj79EilEEvPKT4_S3_PKT3_S3_S6_S3_S6_S3_PS4_21rocsparse_index_base_S8_S8_bb,@function
_ZN9rocsparseL25csrgemm_nnz_block_per_rowILj1024ELj32ELj65536ELj79EilEEvPKT4_S3_PKT3_S3_S6_S3_S6_S3_PS4_21rocsparse_index_base_S8_S8_bb: ; @_ZN9rocsparseL25csrgemm_nnz_block_per_rowILj1024ELj32ELj65536ELj79EilEEvPKT4_S3_PKT3_S3_S6_S3_S6_S3_PS4_21rocsparse_index_base_S8_S8_bb
; %bb.0:
	s_mov_b32 s2, s15
	s_load_b256 s[8:15], s[0:1], 0x0
	s_mov_b32 s3, 0
	s_load_b64 s[20:21], s[0:1], 0x40
	v_mov_b32_e32 v1, -1
	v_or_b32_e32 v3, 0xfffffc00, v0
	v_lshl_add_u32 v4, v0, 3, 0
	s_delay_alu instid0(VALU_DEP_3) | instskip(SKIP_4) | instid1(SALU_CYCLE_1)
	v_mov_b32_e32 v2, v1
	s_waitcnt lgkmcnt(0)
	s_load_b64 s[4:5], s[8:9], 0x0
	s_waitcnt lgkmcnt(0)
	s_lshl_b64 s[4:5], s[4:5], 3
	s_add_u32 s6, s10, s4
	s_addc_u32 s7, s11, s5
	s_lshl_b64 s[4:5], s[2:3], 3
	s_delay_alu instid0(SALU_CYCLE_1)
	s_add_u32 s16, s6, s4
	s_addc_u32 s17, s7, s5
	s_load_b256 s[4:11], s[0:1], 0x20
	s_load_b64 s[22:23], s[16:17], 0x0
.LBB27_1:                               ; =>This Inner Loop Header: Depth=1
	v_add_nc_u32_e32 v3, 0x400, v3
	ds_store_b64 v4, v[1:2]
	v_add_nc_u32_e32 v4, 0x2000, v4
	v_cmp_lt_u32_e32 vcc_lo, 0xfbff, v3
	s_or_b32 s3, vcc_lo, s3
	s_delay_alu instid0(SALU_CYCLE_1)
	s_and_not1_b32 exec_lo, exec_lo, s3
	s_cbranch_execnz .LBB27_1
; %bb.2:
	s_or_b32 exec_lo, exec_lo, s3
	s_load_b128 s[16:19], s[0:1], 0x48
	v_dual_mov_b32 v1, 0 :: v_dual_and_b32 v10, 31, v0
	v_lshrrev_b32_e32 v9, 5, v0
	v_mov_b32_e32 v2, 0
	s_waitcnt lgkmcnt(0)
	s_barrier
	buffer_gl0_inv
	s_bitcmp1_b32 s19, 0
	s_cselect_b32 s2, -1, 0
	s_delay_alu instid0(SALU_CYCLE_1)
	s_and_b32 vcc_lo, exec_lo, s2
	s_cbranch_vccz .LBB27_20
; %bb.3:
	s_lshl_b64 s[2:3], s[22:23], 2
	v_subrev_nc_u32_e32 v1, s16, v9
	s_add_u32 s2, s12, s2
	s_addc_u32 s3, s13, s3
	s_load_b64 s[2:3], s[2:3], 0x0
	s_waitcnt lgkmcnt(0)
	v_add_nc_u32_e32 v3, s2, v1
	v_mov_b32_e32 v1, 0
	v_mov_b32_e32 v2, 0
	s_sub_i32 s12, s3, s16
	s_mov_b32 s3, exec_lo
	v_cmpx_gt_i32_e64 s12, v3
	s_cbranch_execz .LBB27_19
; %bb.4:
	v_mov_b32_e32 v1, 0
	v_mov_b32_e32 v2, 0
	v_subrev_nc_u32_e32 v11, s17, v10
	s_mov_b32 s13, 0
	s_mov_b32 s19, s17
	s_branch .LBB27_7
.LBB27_5:                               ;   in Loop: Header=BB27_7 Depth=1
	s_or_b32 exec_lo, exec_lo, s25
.LBB27_6:                               ;   in Loop: Header=BB27_7 Depth=1
	s_delay_alu instid0(SALU_CYCLE_1) | instskip(SKIP_1) | instid1(VALU_DEP_1)
	s_or_b32 exec_lo, exec_lo, s24
	v_add_nc_u32_e32 v3, 32, v3
	v_cmp_le_i32_e32 vcc_lo, s12, v3
	s_or_b32 s13, vcc_lo, s13
	s_delay_alu instid0(SALU_CYCLE_1)
	s_and_not1_b32 exec_lo, exec_lo, s13
	s_cbranch_execz .LBB27_18
.LBB27_7:                               ; =>This Loop Header: Depth=1
                                        ;     Child Loop BB27_10 Depth 2
                                        ;       Child Loop BB27_13 Depth 3
	v_ashrrev_i32_e32 v4, 31, v3
	s_mov_b32 s24, exec_lo
	s_delay_alu instid0(VALU_DEP_1) | instskip(NEXT) | instid1(VALU_DEP_1)
	v_lshlrev_b64 v[4:5], 3, v[3:4]
	v_add_co_u32 v4, vcc_lo, s14, v4
	s_delay_alu instid0(VALU_DEP_2) | instskip(SKIP_4) | instid1(VALU_DEP_1)
	v_add_co_ci_u32_e32 v5, vcc_lo, s15, v5, vcc_lo
	global_load_b64 v[4:5], v[4:5], off
	s_waitcnt vmcnt(0)
	v_sub_co_u32 v4, vcc_lo, v4, s16
	v_subrev_co_ci_u32_e32 v5, vcc_lo, 0, v5, vcc_lo
	v_lshlrev_b64 v[4:5], 2, v[4:5]
	s_delay_alu instid0(VALU_DEP_1) | instskip(NEXT) | instid1(VALU_DEP_2)
	v_add_co_u32 v4, vcc_lo, s4, v4
	v_add_co_ci_u32_e32 v5, vcc_lo, s5, v5, vcc_lo
	global_load_b64 v[4:5], v[4:5], off
	s_waitcnt vmcnt(0)
	v_subrev_nc_u32_e32 v12, s17, v5
	v_add_nc_u32_e32 v4, v11, v4
	s_delay_alu instid0(VALU_DEP_1)
	v_cmpx_lt_i32_e64 v4, v12
	s_cbranch_execz .LBB27_6
; %bb.8:                                ;   in Loop: Header=BB27_7 Depth=1
	s_mov_b32 s25, 0
	s_branch .LBB27_10
.LBB27_9:                               ;   in Loop: Header=BB27_10 Depth=2
	s_or_b32 exec_lo, exec_lo, s27
	v_add_nc_u32_e32 v4, 32, v4
	v_cndmask_b32_e64 v5, 0, 1, s26
	s_delay_alu instid0(VALU_DEP_2) | instskip(NEXT) | instid1(VALU_DEP_2)
	v_cmp_ge_i32_e32 vcc_lo, v4, v12
	v_add_co_u32 v1, s2, v1, v5
	s_delay_alu instid0(VALU_DEP_1) | instskip(SKIP_1) | instid1(SALU_CYCLE_1)
	v_add_co_ci_u32_e64 v2, s2, 0, v2, s2
	s_or_b32 s25, vcc_lo, s25
	s_and_not1_b32 exec_lo, exec_lo, s25
	s_cbranch_execz .LBB27_5
.LBB27_10:                              ;   Parent Loop BB27_7 Depth=1
                                        ; =>  This Loop Header: Depth=2
                                        ;       Child Loop BB27_13 Depth 3
	v_ashrrev_i32_e32 v5, 31, v4
	s_mov_b32 s27, 0
                                        ; implicit-def: $sgpr26
                                        ; implicit-def: $sgpr28
                                        ; implicit-def: $sgpr29
                                        ; implicit-def: $sgpr30
	s_delay_alu instid0(VALU_DEP_1) | instskip(NEXT) | instid1(VALU_DEP_1)
	v_lshlrev_b64 v[5:6], 3, v[4:5]
	v_add_co_u32 v5, vcc_lo, s6, v5
	s_delay_alu instid0(VALU_DEP_2) | instskip(SKIP_4) | instid1(VALU_DEP_2)
	v_add_co_ci_u32_e32 v6, vcc_lo, s7, v6, vcc_lo
	global_load_b64 v[5:6], v[5:6], off
	s_waitcnt vmcnt(0)
	v_sub_co_u32 v5, vcc_lo, v5, s19
	v_subrev_co_ci_u32_e32 v6, vcc_lo, 0, v6, vcc_lo
	v_mul_lo_u32 v7, 0x4f, v5
	s_delay_alu instid0(VALU_DEP_1)
	v_and_b32_e32 v13, 0xffff, v7
	s_branch .LBB27_13
.LBB27_11:                              ;   in Loop: Header=BB27_13 Depth=3
	s_or_b32 exec_lo, exec_lo, s35
	s_delay_alu instid0(SALU_CYCLE_1)
	s_and_not1_b32 s2, s29, exec_lo
	s_and_b32 s29, s34, exec_lo
	s_and_not1_b32 s28, s28, exec_lo
	s_and_b32 s30, s33, exec_lo
	s_or_b32 s29, s2, s29
	s_or_b32 s28, s28, s30
                                        ; implicit-def: $sgpr30
.LBB27_12:                              ;   in Loop: Header=BB27_13 Depth=3
	s_or_b32 exec_lo, exec_lo, s31
	s_xor_b32 s2, s28, -1
	s_delay_alu instid0(SALU_CYCLE_1) | instskip(NEXT) | instid1(SALU_CYCLE_1)
	s_and_b32 s2, exec_lo, s2
	s_or_b32 s27, s2, s27
	s_and_not1_b32 s2, s30, exec_lo
	s_and_b32 s31, s29, exec_lo
	s_and_not1_b32 s26, s26, exec_lo
	s_or_b32 s30, s2, s31
	s_or_b32 s26, s26, s31
	s_and_not1_b32 exec_lo, exec_lo, s27
	s_cbranch_execz .LBB27_9
.LBB27_13:                              ;   Parent Loop BB27_7 Depth=1
                                        ;     Parent Loop BB27_10 Depth=2
                                        ; =>    This Inner Loop Header: Depth=3
	s_delay_alu instid0(VALU_DEP_1)
	v_lshl_add_u32 v14, v13, 3, 0
	s_and_not1_b32 s29, s29, exec_lo
	s_and_not1_b32 s28, s28, exec_lo
	s_mov_b32 s31, exec_lo
	ds_load_b64 v[7:8], v14
	s_waitcnt lgkmcnt(0)
	v_cmpx_ne_u64_e64 v[7:8], v[5:6]
	s_cbranch_execz .LBB27_12
; %bb.14:                               ;   in Loop: Header=BB27_13 Depth=3
	s_mov_b32 s2, exec_lo
                                        ; implicit-def: $sgpr34
                                        ; implicit-def: $sgpr33
	v_cmpx_ne_u64_e32 -1, v[7:8]
	s_xor_b32 s2, exec_lo, s2
; %bb.15:                               ;   in Loop: Header=BB27_13 Depth=3
	v_add_nc_u32_e32 v7, 1, v13
	s_mov_b32 s33, -1
	s_and_b32 s34, s30, exec_lo
                                        ; implicit-def: $vgpr14
	s_delay_alu instid0(VALU_DEP_1)
	v_and_b32_e32 v13, 0xffff, v7
; %bb.16:                               ;   in Loop: Header=BB27_13 Depth=3
	s_and_not1_saveexec_b32 s35, s2
	s_cbranch_execz .LBB27_11
; %bb.17:                               ;   in Loop: Header=BB27_13 Depth=3
	v_mov_b32_e32 v7, -1
	v_mov_b32_e32 v8, -1
	s_and_not1_b32 s33, s33, exec_lo
	s_and_not1_b32 s34, s34, exec_lo
	ds_cmpstore_rtn_b64 v[7:8], v14, v[5:6], v[7:8]
	s_waitcnt lgkmcnt(0)
	v_cmp_eq_u64_e32 vcc_lo, -1, v[7:8]
	v_cmp_ne_u64_e64 s2, -1, v[7:8]
	s_or_b32 s30, vcc_lo, s30
	s_delay_alu instid0(VALU_DEP_1)
	s_and_b32 s2, s2, exec_lo
	s_and_b32 s30, s30, exec_lo
	s_or_b32 s33, s33, s2
	s_or_b32 s34, s34, s30
	s_branch .LBB27_11
.LBB27_18:
	s_or_b32 exec_lo, exec_lo, s13
.LBB27_19:
	s_delay_alu instid0(SALU_CYCLE_1)
	s_or_b32 exec_lo, exec_lo, s3
.LBB27_20:
	s_load_b32 s0, s[0:1], 0x54
	s_waitcnt lgkmcnt(0)
	s_bfe_u32 s0, s0, 0x10008
	s_delay_alu instid0(SALU_CYCLE_1)
	s_cmp_eq_u32 s0, 0
	s_cbranch_scc1 .LBB27_34
; %bb.21:
	s_lshl_b64 s[0:1], s[22:23], 2
	v_subrev_nc_u32_e32 v3, s18, v9
	s_add_u32 s0, s8, s0
	s_addc_u32 s1, s9, s1
	s_load_b64 s[0:1], s[0:1], 0x0
	s_waitcnt lgkmcnt(0)
	v_add_nc_u32_e32 v3, s0, v3
	s_sub_i32 s2, s1, s18
	s_mov_b32 s1, exec_lo
	s_delay_alu instid0(VALU_DEP_1)
	v_cmpx_gt_i32_e64 s2, v3
	s_cbranch_execz .LBB27_33
; %bb.22:
	s_mov_b32 s3, 0
	s_branch .LBB27_24
.LBB27_23:                              ;   in Loop: Header=BB27_24 Depth=1
	s_or_b32 exec_lo, exec_lo, s5
	v_add_nc_u32_e32 v3, 32, v3
	v_cndmask_b32_e64 v4, 0, 1, s4
	s_delay_alu instid0(VALU_DEP_2) | instskip(NEXT) | instid1(VALU_DEP_2)
	v_cmp_le_i32_e32 vcc_lo, s2, v3
	v_add_co_u32 v1, s0, v1, v4
	s_delay_alu instid0(VALU_DEP_1) | instskip(SKIP_1) | instid1(SALU_CYCLE_1)
	v_add_co_ci_u32_e64 v2, s0, 0, v2, s0
	s_or_b32 s3, vcc_lo, s3
	s_and_not1_b32 exec_lo, exec_lo, s3
	s_cbranch_execz .LBB27_32
.LBB27_24:                              ; =>This Loop Header: Depth=1
                                        ;     Child Loop BB27_27 Depth 2
	v_ashrrev_i32_e32 v4, 31, v3
	s_mov_b32 s5, 0
                                        ; implicit-def: $sgpr4
                                        ; implicit-def: $sgpr6
                                        ; implicit-def: $sgpr7
                                        ; implicit-def: $sgpr8
	s_delay_alu instid0(VALU_DEP_1) | instskip(NEXT) | instid1(VALU_DEP_1)
	v_lshlrev_b64 v[4:5], 3, v[3:4]
	v_add_co_u32 v4, vcc_lo, s10, v4
	s_delay_alu instid0(VALU_DEP_2) | instskip(SKIP_4) | instid1(VALU_DEP_2)
	v_add_co_ci_u32_e32 v5, vcc_lo, s11, v5, vcc_lo
	global_load_b64 v[4:5], v[4:5], off
	s_waitcnt vmcnt(0)
	v_sub_co_u32 v4, vcc_lo, v4, s18
	v_subrev_co_ci_u32_e32 v5, vcc_lo, 0, v5, vcc_lo
	v_mul_lo_u32 v6, 0x4f, v4
	s_delay_alu instid0(VALU_DEP_1)
	v_and_b32_e32 v8, 0xffff, v6
	s_branch .LBB27_27
.LBB27_25:                              ;   in Loop: Header=BB27_27 Depth=2
	s_or_b32 exec_lo, exec_lo, s14
	s_delay_alu instid0(SALU_CYCLE_1)
	s_and_not1_b32 s0, s7, exec_lo
	s_and_b32 s7, s13, exec_lo
	s_and_not1_b32 s6, s6, exec_lo
	s_and_b32 s8, s12, exec_lo
	s_or_b32 s7, s0, s7
	s_or_b32 s6, s6, s8
                                        ; implicit-def: $sgpr8
.LBB27_26:                              ;   in Loop: Header=BB27_27 Depth=2
	s_or_b32 exec_lo, exec_lo, s9
	s_xor_b32 s0, s6, -1
	s_delay_alu instid0(SALU_CYCLE_1) | instskip(NEXT) | instid1(SALU_CYCLE_1)
	s_and_b32 s0, exec_lo, s0
	s_or_b32 s5, s0, s5
	s_and_not1_b32 s0, s8, exec_lo
	s_and_b32 s9, s7, exec_lo
	s_and_not1_b32 s4, s4, exec_lo
	s_or_b32 s8, s0, s9
	s_or_b32 s4, s4, s9
	s_and_not1_b32 exec_lo, exec_lo, s5
	s_cbranch_execz .LBB27_23
.LBB27_27:                              ;   Parent Loop BB27_24 Depth=1
                                        ; =>  This Inner Loop Header: Depth=2
	s_delay_alu instid0(VALU_DEP_1)
	v_lshl_add_u32 v11, v8, 3, 0
	s_and_not1_b32 s7, s7, exec_lo
	s_and_not1_b32 s6, s6, exec_lo
	s_mov_b32 s9, exec_lo
	ds_load_b64 v[6:7], v11
	s_waitcnt lgkmcnt(0)
	v_cmpx_ne_u64_e64 v[6:7], v[4:5]
	s_cbranch_execz .LBB27_26
; %bb.28:                               ;   in Loop: Header=BB27_27 Depth=2
	s_mov_b32 s0, exec_lo
                                        ; implicit-def: $sgpr13
                                        ; implicit-def: $sgpr12
	v_cmpx_ne_u64_e32 -1, v[6:7]
	s_xor_b32 s0, exec_lo, s0
; %bb.29:                               ;   in Loop: Header=BB27_27 Depth=2
	v_add_nc_u32_e32 v6, 1, v8
	s_mov_b32 s12, -1
	s_and_b32 s13, s8, exec_lo
                                        ; implicit-def: $vgpr11
	s_delay_alu instid0(VALU_DEP_1)
	v_and_b32_e32 v8, 0xffff, v6
; %bb.30:                               ;   in Loop: Header=BB27_27 Depth=2
	s_and_not1_saveexec_b32 s14, s0
	s_cbranch_execz .LBB27_25
; %bb.31:                               ;   in Loop: Header=BB27_27 Depth=2
	v_mov_b32_e32 v6, -1
	v_mov_b32_e32 v7, -1
	s_and_not1_b32 s12, s12, exec_lo
	s_and_not1_b32 s13, s13, exec_lo
	ds_cmpstore_rtn_b64 v[6:7], v11, v[4:5], v[6:7]
	s_waitcnt lgkmcnt(0)
	v_cmp_eq_u64_e32 vcc_lo, -1, v[6:7]
	v_cmp_ne_u64_e64 s0, -1, v[6:7]
	s_or_b32 s8, vcc_lo, s8
	s_delay_alu instid0(VALU_DEP_1)
	s_and_b32 s0, s0, exec_lo
	s_and_b32 s8, s8, exec_lo
	s_or_b32 s12, s12, s0
	s_or_b32 s13, s13, s8
	s_branch .LBB27_25
.LBB27_32:
	s_or_b32 exec_lo, exec_lo, s3
.LBB27_33:
	s_delay_alu instid0(SALU_CYCLE_1)
	s_or_b32 exec_lo, exec_lo, s1
.LBB27_34:
	v_mbcnt_lo_u32_b32 v7, -1, 0
	s_mov_b32 s0, exec_lo
	s_barrier
	buffer_gl0_inv
	v_xor_b32_e32 v3, 16, v7
	v_xor_b32_e32 v4, 8, v7
	;; [unrolled: 1-line block ×3, first 2 shown]
	s_delay_alu instid0(VALU_DEP_3) | instskip(SKIP_1) | instid1(VALU_DEP_4)
	v_cmp_gt_i32_e32 vcc_lo, 32, v3
	v_cndmask_b32_e32 v3, v7, v3, vcc_lo
	v_cmp_gt_i32_e32 vcc_lo, 32, v4
	v_cndmask_b32_e32 v4, v7, v4, vcc_lo
	s_delay_alu instid0(VALU_DEP_1) | instskip(NEXT) | instid1(VALU_DEP_4)
	v_lshlrev_b32_e32 v4, 2, v4
	v_lshlrev_b32_e32 v3, 2, v3
	ds_bpermute_b32 v5, v3, v1
	ds_bpermute_b32 v6, v3, v2
	s_waitcnt lgkmcnt(1)
	v_add_co_u32 v1, vcc_lo, v1, v5
	v_add_co_ci_u32_e32 v2, vcc_lo, 0, v2, vcc_lo
	v_xor_b32_e32 v5, 4, v7
	ds_bpermute_b32 v8, v4, v1
	v_add_co_u32 v1, vcc_lo, 0, v1
	s_waitcnt lgkmcnt(1)
	v_add_co_ci_u32_e32 v2, vcc_lo, v6, v2, vcc_lo
	v_cmp_gt_i32_e32 vcc_lo, 32, v5
	ds_bpermute_b32 v6, v4, v2
	v_cndmask_b32_e32 v5, v7, v5, vcc_lo
	s_delay_alu instid0(VALU_DEP_1)
	v_lshlrev_b32_e32 v5, 2, v5
	s_waitcnt lgkmcnt(1)
	v_add_co_u32 v1, vcc_lo, v1, v8
	v_add_co_ci_u32_e32 v2, vcc_lo, 0, v2, vcc_lo
	ds_bpermute_b32 v8, v5, v1
	v_add_co_u32 v1, vcc_lo, v1, 0
	s_waitcnt lgkmcnt(1)
	v_add_co_ci_u32_e32 v2, vcc_lo, v2, v6, vcc_lo
	v_xor_b32_e32 v6, 2, v7
	ds_bpermute_b32 v11, v5, v2
	v_cmp_gt_i32_e32 vcc_lo, 32, v6
	v_cndmask_b32_e32 v6, v7, v6, vcc_lo
	s_delay_alu instid0(VALU_DEP_1)
	v_lshlrev_b32_e32 v6, 2, v6
	s_waitcnt lgkmcnt(1)
	v_add_co_u32 v1, vcc_lo, v1, v8
	v_add_co_ci_u32_e32 v2, vcc_lo, 0, v2, vcc_lo
	ds_bpermute_b32 v8, v6, v1
	v_add_co_u32 v1, vcc_lo, v1, 0
	s_waitcnt lgkmcnt(1)
	v_add_co_ci_u32_e32 v2, vcc_lo, v2, v11, vcc_lo
	v_cmp_gt_i32_e32 vcc_lo, 32, v12
	ds_bpermute_b32 v11, v6, v2
	v_cndmask_b32_e32 v7, v7, v12, vcc_lo
	s_delay_alu instid0(VALU_DEP_1) | instskip(SKIP_3) | instid1(VALU_DEP_2)
	v_lshlrev_b32_e32 v7, 2, v7
	s_waitcnt lgkmcnt(1)
	v_add_co_u32 v1, vcc_lo, v1, v8
	v_add_co_ci_u32_e32 v8, vcc_lo, 0, v2, vcc_lo
	v_add_co_u32 v2, vcc_lo, v1, 0
	s_waitcnt lgkmcnt(0)
	s_delay_alu instid0(VALU_DEP_2)
	v_add_co_ci_u32_e32 v8, vcc_lo, v8, v11, vcc_lo
	ds_bpermute_b32 v11, v7, v1
	ds_bpermute_b32 v1, v7, v8
	v_cmpx_eq_u32_e32 31, v10
	s_cbranch_execz .LBB27_36
; %bb.35:
	s_waitcnt lgkmcnt(1)
	v_add_co_u32 v2, vcc_lo, v2, v11
	v_add_co_ci_u32_e32 v10, vcc_lo, 0, v8, vcc_lo
	v_lshl_add_u32 v11, v9, 3, 0
	s_delay_alu instid0(VALU_DEP_3) | instskip(SKIP_1) | instid1(VALU_DEP_3)
	v_add_co_u32 v8, vcc_lo, v2, 0
	s_waitcnt lgkmcnt(0)
	v_add_co_ci_u32_e32 v9, vcc_lo, v10, v1, vcc_lo
	ds_store_b64 v11, v[8:9]
.LBB27_36:
	s_or_b32 exec_lo, exec_lo, s0
	s_delay_alu instid0(SALU_CYCLE_1)
	s_mov_b32 s0, exec_lo
	s_waitcnt lgkmcnt(0)
	v_mov_b32_e32 v1, 0
	v_mov_b32_e32 v2, 0
	s_barrier
	buffer_gl0_inv
	v_cmpx_gt_u32_e32 32, v0
	s_cbranch_execz .LBB27_38
; %bb.37:
	v_lshl_add_u32 v1, v0, 3, 0
	ds_load_b64 v[1:2], v1
.LBB27_38:
	s_or_b32 exec_lo, exec_lo, s0
	s_waitcnt lgkmcnt(0)
	ds_bpermute_b32 v2, v3, v1
	s_mov_b32 s0, exec_lo
	s_waitcnt lgkmcnt(0)
	v_add_nc_u32_e32 v1, v1, v2
	ds_bpermute_b32 v2, v4, v1
	s_waitcnt lgkmcnt(0)
	v_add_nc_u32_e32 v1, v1, v2
	ds_bpermute_b32 v2, v5, v1
	;; [unrolled: 3-line block ×4, first 2 shown]
	v_cmpx_eq_u32_e32 31, v0
	s_cbranch_execz .LBB27_40
; %bb.39:
	s_lshl_b64 s[0:1], s[22:23], 2
	s_waitcnt lgkmcnt(0)
	v_dual_mov_b32 v0, 0 :: v_dual_add_nc_u32 v1, v2, v1
	s_add_u32 s0, s20, s0
	s_addc_u32 s1, s21, s1
	global_store_b32 v0, v1, s[0:1]
.LBB27_40:
	s_nop 0
	s_sendmsg sendmsg(MSG_DEALLOC_VGPRS)
	s_endpgm
	.section	.rodata,"a",@progbits
	.p2align	6, 0x0
	.amdhsa_kernel _ZN9rocsparseL25csrgemm_nnz_block_per_rowILj1024ELj32ELj65536ELj79EilEEvPKT4_S3_PKT3_S3_S6_S3_S6_S3_PS4_21rocsparse_index_base_S8_S8_bb
		.amdhsa_group_segment_fixed_size 0
		.amdhsa_private_segment_fixed_size 0
		.amdhsa_kernarg_size 88
		.amdhsa_user_sgpr_count 15
		.amdhsa_user_sgpr_dispatch_ptr 0
		.amdhsa_user_sgpr_queue_ptr 0
		.amdhsa_user_sgpr_kernarg_segment_ptr 1
		.amdhsa_user_sgpr_dispatch_id 0
		.amdhsa_user_sgpr_private_segment_size 0
		.amdhsa_wavefront_size32 1
		.amdhsa_uses_dynamic_stack 0
		.amdhsa_enable_private_segment 0
		.amdhsa_system_sgpr_workgroup_id_x 1
		.amdhsa_system_sgpr_workgroup_id_y 0
		.amdhsa_system_sgpr_workgroup_id_z 0
		.amdhsa_system_sgpr_workgroup_info 0
		.amdhsa_system_vgpr_workitem_id 0
		.amdhsa_next_free_vgpr 15
		.amdhsa_next_free_sgpr 36
		.amdhsa_reserve_vcc 1
		.amdhsa_float_round_mode_32 0
		.amdhsa_float_round_mode_16_64 0
		.amdhsa_float_denorm_mode_32 3
		.amdhsa_float_denorm_mode_16_64 3
		.amdhsa_dx10_clamp 1
		.amdhsa_ieee_mode 1
		.amdhsa_fp16_overflow 0
		.amdhsa_workgroup_processor_mode 1
		.amdhsa_memory_ordered 1
		.amdhsa_forward_progress 0
		.amdhsa_shared_vgpr_count 0
		.amdhsa_exception_fp_ieee_invalid_op 0
		.amdhsa_exception_fp_denorm_src 0
		.amdhsa_exception_fp_ieee_div_zero 0
		.amdhsa_exception_fp_ieee_overflow 0
		.amdhsa_exception_fp_ieee_underflow 0
		.amdhsa_exception_fp_ieee_inexact 0
		.amdhsa_exception_int_div_zero 0
	.end_amdhsa_kernel
	.section	.text._ZN9rocsparseL25csrgemm_nnz_block_per_rowILj1024ELj32ELj65536ELj79EilEEvPKT4_S3_PKT3_S3_S6_S3_S6_S3_PS4_21rocsparse_index_base_S8_S8_bb,"axG",@progbits,_ZN9rocsparseL25csrgemm_nnz_block_per_rowILj1024ELj32ELj65536ELj79EilEEvPKT4_S3_PKT3_S3_S6_S3_S6_S3_PS4_21rocsparse_index_base_S8_S8_bb,comdat
.Lfunc_end27:
	.size	_ZN9rocsparseL25csrgemm_nnz_block_per_rowILj1024ELj32ELj65536ELj79EilEEvPKT4_S3_PKT3_S3_S6_S3_S6_S3_PS4_21rocsparse_index_base_S8_S8_bb, .Lfunc_end27-_ZN9rocsparseL25csrgemm_nnz_block_per_rowILj1024ELj32ELj65536ELj79EilEEvPKT4_S3_PKT3_S3_S6_S3_S6_S3_PS4_21rocsparse_index_base_S8_S8_bb
                                        ; -- End function
	.section	.AMDGPU.csdata,"",@progbits
; Kernel info:
; codeLenInByte = 1952
; NumSgprs: 38
; NumVgprs: 15
; ScratchSize: 0
; MemoryBound: 0
; FloatMode: 240
; IeeeMode: 1
; LDSByteSize: 0 bytes/workgroup (compile time only)
; SGPRBlocks: 4
; VGPRBlocks: 1
; NumSGPRsForWavesPerEU: 38
; NumVGPRsForWavesPerEU: 15
; Occupancy: 16
; WaveLimiterHint : 1
; COMPUTE_PGM_RSRC2:SCRATCH_EN: 0
; COMPUTE_PGM_RSRC2:USER_SGPR: 15
; COMPUTE_PGM_RSRC2:TRAP_HANDLER: 0
; COMPUTE_PGM_RSRC2:TGID_X_EN: 1
; COMPUTE_PGM_RSRC2:TGID_Y_EN: 0
; COMPUTE_PGM_RSRC2:TGID_Z_EN: 0
; COMPUTE_PGM_RSRC2:TIDIG_COMP_CNT: 0
	.section	.text._ZN9rocsparseL35csrgemm_nnz_block_per_row_multipassILj512ELj16ELj2048EilEEvT3_PKS1_S3_PKT2_S3_S6_S3_S6_S3_PS4_S7_21rocsparse_index_base_S8_S8_bb,"axG",@progbits,_ZN9rocsparseL35csrgemm_nnz_block_per_row_multipassILj512ELj16ELj2048EilEEvT3_PKS1_S3_PKT2_S3_S6_S3_S6_S3_PS4_S7_21rocsparse_index_base_S8_S8_bb,comdat
	.globl	_ZN9rocsparseL35csrgemm_nnz_block_per_row_multipassILj512ELj16ELj2048EilEEvT3_PKS1_S3_PKT2_S3_S6_S3_S6_S3_PS4_S7_21rocsparse_index_base_S8_S8_bb ; -- Begin function _ZN9rocsparseL35csrgemm_nnz_block_per_row_multipassILj512ELj16ELj2048EilEEvT3_PKS1_S3_PKT2_S3_S6_S3_S6_S3_PS4_S7_21rocsparse_index_base_S8_S8_bb
	.p2align	8
	.type	_ZN9rocsparseL35csrgemm_nnz_block_per_row_multipassILj512ELj16ELj2048EilEEvT3_PKS1_S3_PKT2_S3_S6_S3_S6_S3_PS4_S7_21rocsparse_index_base_S8_S8_bb,@function
_ZN9rocsparseL35csrgemm_nnz_block_per_row_multipassILj512ELj16ELj2048EilEEvT3_PKS1_S3_PKT2_S3_S6_S3_S6_S3_PS4_S7_21rocsparse_index_base_S8_S8_bb: ; @_ZN9rocsparseL35csrgemm_nnz_block_per_row_multipassILj512ELj16ELj2048EilEEvT3_PKS1_S3_PKT2_S3_S6_S3_S6_S3_PS4_S7_21rocsparse_index_base_S8_S8_bb
; %bb.0:
	s_clause 0x1
	s_load_b128 s[8:11], s[0:1], 0x8
	s_load_b64 s[4:5], s[0:1], 0x18
	s_mov_b32 s2, s15
	s_mov_b32 s3, 0
	s_waitcnt lgkmcnt(0)
	s_load_b64 s[6:7], s[8:9], 0x0
	s_waitcnt lgkmcnt(0)
	s_lshl_b64 s[6:7], s[6:7], 3
	s_delay_alu instid0(SALU_CYCLE_1)
	s_add_u32 s8, s10, s6
	s_addc_u32 s9, s11, s7
	s_lshl_b64 s[6:7], s[2:3], 3
	v_cmp_eq_u32_e64 s2, 0, v0
	s_add_u32 s6, s8, s6
	s_addc_u32 s7, s9, s7
	s_delay_alu instid0(VALU_DEP_1)
	s_and_saveexec_b32 s8, s2
	s_cbranch_execz .LBB28_2
; %bb.1:
	v_mov_b32_e32 v1, 0
	s_delay_alu instid0(VALU_DEP_1)
	v_mov_b32_e32 v2, v1
	ds_store_b64 v1, v[1:2] offset:2056
.LBB28_2:
	s_or_b32 exec_lo, exec_lo, s8
	s_load_b128 s[16:19], s[0:1], 0x58
	s_load_b64 s[6:7], s[6:7], 0x0
	s_waitcnt lgkmcnt(0)
	s_bitcmp1_b32 s19, 0
	s_cselect_b32 s28, -1, 0
	s_bitcmp0_b32 s19, 0
	s_cbranch_scc0 .LBB28_5
; %bb.3:
	s_and_not1_b32 vcc_lo, exec_lo, s28
	s_mov_b32 s19, 0
	s_cbranch_vccz .LBB28_6
.LBB28_4:
	s_load_b64 s[20:21], s[0:1], 0x0
	s_waitcnt lgkmcnt(0)
	v_cmp_lt_i64_e64 s4, s[20:21], 1
	s_delay_alu instid0(VALU_DEP_1)
	s_and_b32 vcc_lo, exec_lo, s4
	s_cbranch_vccz .LBB28_7
	s_branch .LBB28_68
.LBB28_5:
	s_lshl_b64 s[8:9], s[6:7], 2
	s_delay_alu instid0(SALU_CYCLE_1)
	s_add_u32 s8, s4, s8
	s_addc_u32 s9, s5, s9
	s_load_b32 s3, s[8:9], 0x0
	s_waitcnt lgkmcnt(0)
	s_sub_i32 s3, s3, s16
	s_and_not1_b32 vcc_lo, exec_lo, s28
	s_mov_b32 s19, 0
	s_cbranch_vccnz .LBB28_4
.LBB28_6:
	s_lshl_b64 s[8:9], s[6:7], 2
	s_delay_alu instid0(SALU_CYCLE_1)
	s_add_u32 s4, s4, s8
	s_addc_u32 s5, s5, s9
	s_load_b32 s4, s[4:5], 0x4
	s_waitcnt lgkmcnt(0)
	s_sub_i32 s19, s4, s16
	s_load_b64 s[20:21], s[0:1], 0x0
	s_waitcnt lgkmcnt(0)
	v_cmp_lt_i64_e64 s4, s[20:21], 1
	s_delay_alu instid0(VALU_DEP_1)
	s_and_b32 vcc_lo, exec_lo, s4
	s_cbranch_vccnz .LBB28_68
.LBB28_7:
	v_lshrrev_b32_e32 v1, 4, v0
	v_mbcnt_lo_u32_b32 v2, -1, 0
	s_clause 0x3
	s_load_b32 s5, s[0:1], 0x64
	s_load_b256 s[8:15], s[0:1], 0x20
	s_load_b64 s[22:23], s[0:1], 0x50
	s_load_b64 s[24:25], s[0:1], 0x40
	v_and_b32_e32 v14, 15, v0
	v_add_nc_u32_e32 v15, s3, v1
	v_xor_b32_e32 v1, 8, v2
	v_xor_b32_e32 v3, 4, v2
	;; [unrolled: 1-line block ×4, first 2 shown]
	v_subrev_nc_u32_e32 v16, s18, v0
	v_cmp_gt_i32_e64 s4, 32, v1
	v_or_b32_e32 v21, 0xfffffe00, v0
	s_mov_b32 s26, s17
	v_dual_mov_b32 v22, 0 :: v_dual_mov_b32 v23, 1
	s_delay_alu instid0(VALU_DEP_3) | instskip(SKIP_1) | instid1(VALU_DEP_2)
	v_cndmask_b32_e64 v1, v2, v1, s4
	v_cmp_gt_i32_e64 s4, 32, v3
	v_lshlrev_b32_e32 v17, 2, v1
	s_delay_alu instid0(VALU_DEP_2)
	v_cndmask_b32_e64 v3, v2, v3, s4
	v_cmp_gt_i32_e64 s4, 32, v4
	s_waitcnt lgkmcnt(0)
	s_bitcmp1_b32 s5, 8
	s_cselect_b32 s27, -1, 0
	s_lshl_b64 s[30:31], s[6:7], 2
	v_cndmask_b32_e64 v4, v2, v4, s4
	v_cmp_gt_i32_e64 s4, 32, v5
	v_lshlrev_b32_e32 v18, 2, v3
	s_add_u32 s14, s14, s30
	s_addc_u32 s15, s15, s31
	v_lshlrev_b32_e32 v19, 2, v4
	v_cndmask_b32_e64 v2, v2, v5, s4
	v_mov_b32_e32 v3, 0x800
	v_mov_b32_e32 v4, 0
	s_mov_b32 s31, -1
	s_delay_alu instid0(VALU_DEP_3)
	v_dual_mov_b32 v1, 0 :: v_dual_lshlrev_b32 v20, 2, v2
	v_mov_b32_e32 v2, 0
	v_cmp_gt_i32_e32 vcc_lo, s19, v15
	v_cmp_eq_u32_e64 s3, 15, v14
	s_and_b32 s28, s28, vcc_lo
	s_add_u32 s29, s10, 4
	s_addc_u32 s30, s11, 0
	s_branch .LBB28_9
.LBB28_8:                               ;   in Loop: Header=BB28_9 Depth=1
	s_or_b32 exec_lo, exec_lo, s33
	s_waitcnt lgkmcnt(0)
	s_barrier
	buffer_gl0_inv
	ds_load_b64 v[1:2], v22 offset:2048
	s_waitcnt lgkmcnt(0)
	s_barrier
	buffer_gl0_inv
	v_cmp_gt_i64_e32 vcc_lo, s[20:21], v[1:2]
	v_add_co_u32 v3, s4, 0x800, v1
	s_delay_alu instid0(VALU_DEP_1)
	v_add_co_ci_u32_e64 v4, s4, 0, v2, s4
	s_cbranch_vccz .LBB28_68
.LBB28_9:                               ; =>This Loop Header: Depth=1
                                        ;     Child Loop BB28_18 Depth 2
                                        ;       Child Loop BB28_26 Depth 3
                                        ;     Child Loop BB28_46 Depth 2
                                        ;     Child Loop BB28_58 Depth 2
	;; [unrolled: 1-line block ×4, first 2 shown]
	s_and_saveexec_b32 s4, s31
	s_cbranch_execnz .LBB28_37
; %bb.10:                               ;   in Loop: Header=BB28_9 Depth=1
	s_or_b32 exec_lo, exec_lo, s4
	s_and_saveexec_b32 s4, s31
	s_cbranch_execnz .LBB28_38
.LBB28_11:                              ;   in Loop: Header=BB28_9 Depth=1
	s_or_b32 exec_lo, exec_lo, s4
	s_and_saveexec_b32 s4, s31
	s_cbranch_execnz .LBB28_39
.LBB28_12:                              ;   in Loop: Header=BB28_9 Depth=1
	s_or_b32 exec_lo, exec_lo, s4
	s_and_saveexec_b32 s4, s31
	s_cbranch_execnz .LBB28_40
.LBB28_13:                              ;   in Loop: Header=BB28_9 Depth=1
	s_or_b32 exec_lo, exec_lo, s4
	s_and_saveexec_b32 s4, s2
	s_cbranch_execz .LBB28_15
.LBB28_14:                              ;   in Loop: Header=BB28_9 Depth=1
	v_dual_mov_b32 v5, s20 :: v_dual_mov_b32 v6, s21
	ds_store_b64 v22, v[5:6] offset:2048
.LBB28_15:                              ;   in Loop: Header=BB28_9 Depth=1
	s_or_b32 exec_lo, exec_lo, s4
	v_dual_mov_b32 v5, s20 :: v_dual_mov_b32 v6, s21
	s_waitcnt lgkmcnt(0)
	s_barrier
	buffer_gl0_inv
	s_and_saveexec_b32 s33, s28
	s_cbranch_execz .LBB28_42
; %bb.16:                               ;   in Loop: Header=BB28_9 Depth=1
	v_cmp_ne_u64_e64 s4, 0, v[1:2]
	v_dual_mov_b32 v5, s20 :: v_dual_mov_b32 v6, s21
	v_mov_b32_e32 v7, v15
	s_mov_b32 s34, 0
	s_branch .LBB28_18
.LBB28_17:                              ;   in Loop: Header=BB28_18 Depth=2
	s_or_b32 exec_lo, exec_lo, s5
	v_add_nc_u32_e32 v7, 32, v7
	s_delay_alu instid0(VALU_DEP_1) | instskip(SKIP_1) | instid1(SALU_CYCLE_1)
	v_cmp_le_i32_e32 vcc_lo, s19, v7
	s_or_b32 s34, vcc_lo, s34
	s_and_not1_b32 exec_lo, exec_lo, s34
	s_cbranch_execz .LBB28_41
.LBB28_18:                              ;   Parent Loop BB28_9 Depth=1
                                        ; =>  This Loop Header: Depth=2
                                        ;       Child Loop BB28_26 Depth 3
	s_delay_alu instid0(VALU_DEP_1) | instskip(NEXT) | instid1(VALU_DEP_1)
	v_ashrrev_i32_e32 v8, 31, v7
	v_lshlrev_b64 v[9:10], 3, v[7:8]
	s_delay_alu instid0(VALU_DEP_1) | instskip(NEXT) | instid1(VALU_DEP_2)
	v_add_co_u32 v9, vcc_lo, s8, v9
	v_add_co_ci_u32_e32 v10, vcc_lo, s9, v10, vcc_lo
	s_and_b32 vcc_lo, exec_lo, s4
	s_waitcnt lgkmcnt(0)
	global_load_b64 v[10:11], v[9:10], off
	v_lshlrev_b64 v[8:9], 2, v[7:8]
	s_cbranch_vccz .LBB28_20
; %bb.19:                               ;   in Loop: Header=BB28_18 Depth=2
	s_delay_alu instid0(VALU_DEP_1) | instskip(NEXT) | instid1(VALU_DEP_2)
	v_add_co_u32 v12, vcc_lo, s22, v8
	v_add_co_ci_u32_e32 v13, vcc_lo, s23, v9, vcc_lo
	s_mov_b32 s5, 0
	global_load_b32 v12, v[12:13], off
	s_branch .LBB28_21
.LBB28_20:                              ;   in Loop: Header=BB28_18 Depth=2
	s_mov_b32 s5, -1
                                        ; implicit-def: $vgpr12
.LBB28_21:                              ;   in Loop: Header=BB28_18 Depth=2
	s_waitcnt vmcnt(0)
	v_sub_co_u32 v10, vcc_lo, v10, s16
	v_subrev_co_ci_u32_e32 v11, vcc_lo, 0, v11, vcc_lo
	s_and_not1_b32 vcc_lo, exec_lo, s5
	s_delay_alu instid0(VALU_DEP_1)
	v_lshlrev_b64 v[10:11], 2, v[10:11]
	s_cbranch_vccnz .LBB28_23
; %bb.22:                               ;   in Loop: Header=BB28_18 Depth=2
	s_delay_alu instid0(VALU_DEP_1) | instskip(NEXT) | instid1(VALU_DEP_2)
	v_add_co_u32 v12, vcc_lo, s10, v10
	v_add_co_ci_u32_e32 v13, vcc_lo, s11, v11, vcc_lo
	global_load_b32 v12, v[12:13], off
	s_waitcnt vmcnt(0)
	v_subrev_nc_u32_e32 v12, s17, v12
.LBB28_23:                              ;   in Loop: Header=BB28_18 Depth=2
	s_delay_alu instid0(VALU_DEP_1) | instskip(NEXT) | instid1(VALU_DEP_2)
	v_add_co_u32 v10, vcc_lo, s29, v10
	v_add_co_ci_u32_e32 v11, vcc_lo, s30, v11, vcc_lo
	s_delay_alu instid0(VALU_DEP_3) | instskip(SKIP_4) | instid1(VALU_DEP_1)
	v_add_nc_u32_e32 v24, v12, v14
	s_mov_b32 s35, exec_lo
	global_load_b32 v10, v[10:11], off
	s_waitcnt vmcnt(0)
	v_subrev_nc_u32_e32 v25, s17, v10
	v_cmpx_lt_i32_e64 v24, v25
	s_cbranch_execz .LBB28_35
; %bb.24:                               ;   in Loop: Header=BB28_18 Depth=2
	v_mov_b32_e32 v12, v24
	s_mov_b32 s37, 0
                                        ; implicit-def: $sgpr36
                                        ; implicit-def: $sgpr38
	s_branch .LBB28_26
.LBB28_25:                              ;   in Loop: Header=BB28_26 Depth=3
	s_or_b32 exec_lo, exec_lo, s39
	s_delay_alu instid0(SALU_CYCLE_1) | instskip(SKIP_4) | instid1(SALU_CYCLE_1)
	s_and_b32 s5, exec_lo, s40
	v_mov_b32_e32 v12, v26
	s_or_b32 s37, s5, s37
	s_and_not1_b32 s5, s36, exec_lo
	s_and_b32 s36, s38, exec_lo
	s_or_b32 s36, s5, s36
	s_and_not1_b32 exec_lo, exec_lo, s37
	s_cbranch_execz .LBB28_32
.LBB28_26:                              ;   Parent Loop BB28_9 Depth=1
                                        ;     Parent Loop BB28_18 Depth=2
                                        ; =>    This Inner Loop Header: Depth=3
	s_delay_alu instid0(VALU_DEP_1) | instskip(NEXT) | instid1(VALU_DEP_1)
	v_ashrrev_i32_e32 v13, 31, v12
	v_lshlrev_b64 v[10:11], 3, v[12:13]
	s_delay_alu instid0(VALU_DEP_1) | instskip(NEXT) | instid1(VALU_DEP_2)
	v_add_co_u32 v10, vcc_lo, s12, v10
	v_add_co_ci_u32_e32 v11, vcc_lo, s13, v11, vcc_lo
	global_load_b64 v[10:11], v[10:11], off
	s_waitcnt vmcnt(0)
	v_sub_co_u32 v10, vcc_lo, v10, s26
	v_subrev_co_ci_u32_e32 v11, vcc_lo, 0, v11, vcc_lo
	s_delay_alu instid0(VALU_DEP_1)
	v_cmp_lt_i64_e32 vcc_lo, v[10:11], v[3:4]
	v_cmp_lt_i64_e64 s5, v[10:11], v[1:2]
	s_xor_b32 s39, vcc_lo, -1
	s_delay_alu instid0(VALU_DEP_1) | instid1(SALU_CYCLE_1)
	s_or_b32 s40, s5, s39
	s_mov_b32 s5, 0
                                        ; implicit-def: $sgpr39
	s_and_saveexec_b32 s41, s40
	s_delay_alu instid0(SALU_CYCLE_1)
	s_xor_b32 s40, exec_lo, s41
; %bb.27:                               ;   in Loop: Header=BB28_26 Depth=3
	s_mov_b32 s39, -1
	s_and_b32 s5, vcc_lo, exec_lo
; %bb.28:                               ;   in Loop: Header=BB28_26 Depth=3
	s_and_not1_saveexec_b32 s40, s40
	s_cbranch_execz .LBB28_30
; %bb.29:                               ;   in Loop: Header=BB28_26 Depth=3
	v_sub_nc_u32_e32 v13, v10, v1
	s_or_b32 s5, s5, exec_lo
	ds_store_b8 v13, v23
.LBB28_30:                              ;   in Loop: Header=BB28_26 Depth=3
	s_or_b32 exec_lo, exec_lo, s40
	v_mov_b32_e32 v13, v12
	s_and_not1_b32 s38, s38, exec_lo
	s_and_b32 s39, s39, exec_lo
	s_mov_b32 s40, -1
	s_or_b32 s38, s38, s39
                                        ; implicit-def: $vgpr26
	s_and_saveexec_b32 s39, s5
	s_cbranch_execz .LBB28_25
; %bb.31:                               ;   in Loop: Header=BB28_26 Depth=3
	v_dual_mov_b32 v13, v12 :: v_dual_add_nc_u32 v26, 16, v12
	s_and_not1_b32 s38, s38, exec_lo
	s_delay_alu instid0(VALU_DEP_1)
	v_cmp_ge_i32_e32 vcc_lo, v26, v25
	s_or_not1_b32 s40, vcc_lo, exec_lo
	s_branch .LBB28_25
.LBB28_32:                              ;   in Loop: Header=BB28_18 Depth=2
	s_or_b32 exec_lo, exec_lo, s37
	s_and_saveexec_b32 s5, s36
	s_delay_alu instid0(SALU_CYCLE_1)
	s_xor_b32 s5, exec_lo, s5
; %bb.33:                               ;   in Loop: Header=BB28_18 Depth=2
	v_cmp_lt_i64_e32 vcc_lo, v[10:11], v[5:6]
	v_mov_b32_e32 v24, v13
	v_dual_cndmask_b32 v6, v6, v11 :: v_dual_cndmask_b32 v5, v5, v10
; %bb.34:                               ;   in Loop: Header=BB28_18 Depth=2
	s_or_b32 exec_lo, exec_lo, s5
.LBB28_35:                              ;   in Loop: Header=BB28_18 Depth=2
	s_delay_alu instid0(SALU_CYCLE_1)
	s_or_b32 exec_lo, exec_lo, s35
	ds_bpermute_b32 v10, v17, v24
	s_waitcnt lgkmcnt(0)
	v_min_i32_e32 v10, v10, v24
	ds_bpermute_b32 v11, v18, v10
	s_waitcnt lgkmcnt(0)
	v_min_i32_e32 v10, v11, v10
	;; [unrolled: 3-line block ×3, first 2 shown]
	ds_bpermute_b32 v11, v20, v10
	s_and_saveexec_b32 s5, s3
	s_cbranch_execz .LBB28_17
; %bb.36:                               ;   in Loop: Header=BB28_18 Depth=2
	v_add_co_u32 v8, vcc_lo, s22, v8
	v_add_co_ci_u32_e32 v9, vcc_lo, s23, v9, vcc_lo
	s_waitcnt lgkmcnt(0)
	v_min_i32_e32 v10, v11, v10
	global_store_b32 v[8:9], v10, off
	s_branch .LBB28_17
.LBB28_37:                              ;   in Loop: Header=BB28_9 Depth=1
	ds_store_b8 v0, v22
	s_or_b32 exec_lo, exec_lo, s4
	s_and_saveexec_b32 s4, s31
	s_cbranch_execz .LBB28_11
.LBB28_38:                              ;   in Loop: Header=BB28_9 Depth=1
	ds_store_b8 v0, v22 offset:512
	s_or_b32 exec_lo, exec_lo, s4
	s_and_saveexec_b32 s4, s31
	s_cbranch_execz .LBB28_12
.LBB28_39:                              ;   in Loop: Header=BB28_9 Depth=1
	ds_store_b8 v0, v22 offset:1024
	s_or_b32 exec_lo, exec_lo, s4
	s_and_saveexec_b32 s4, s31
	s_cbranch_execz .LBB28_13
.LBB28_40:                              ;   in Loop: Header=BB28_9 Depth=1
	ds_store_b8 v0, v22 offset:1536
	s_or_b32 exec_lo, exec_lo, s4
	s_and_saveexec_b32 s4, s2
	s_cbranch_execnz .LBB28_14
	s_branch .LBB28_15
.LBB28_41:                              ;   in Loop: Header=BB28_9 Depth=1
	s_or_b32 exec_lo, exec_lo, s34
.LBB28_42:                              ;   in Loop: Header=BB28_9 Depth=1
	s_delay_alu instid0(SALU_CYCLE_1) | instskip(NEXT) | instid1(SALU_CYCLE_1)
	s_or_b32 exec_lo, exec_lo, s33
	s_and_not1_b32 vcc_lo, exec_lo, s27
	s_cbranch_vccnz .LBB28_56
; %bb.43:                               ;   in Loop: Header=BB28_9 Depth=1
	s_load_b64 s[4:5], s[14:15], 0x0
	s_waitcnt lgkmcnt(0)
	v_add_nc_u32_e32 v7, s4, v16
	s_sub_i32 s33, s5, s18
	s_mov_b32 s5, exec_lo
	s_delay_alu instid0(VALU_DEP_1)
	v_cmpx_gt_i32_e64 s33, v7
	s_cbranch_execz .LBB28_55
; %bb.44:                               ;   in Loop: Header=BB28_9 Depth=1
	s_mov_b32 s34, 0
                                        ; implicit-def: $sgpr35
                                        ; implicit-def: $sgpr36
	s_branch .LBB28_46
.LBB28_45:                              ;   in Loop: Header=BB28_46 Depth=2
	s_or_b32 exec_lo, exec_lo, s38
	s_delay_alu instid0(SALU_CYCLE_1) | instskip(NEXT) | instid1(SALU_CYCLE_1)
	s_and_b32 s4, exec_lo, s37
	s_or_b32 s34, s4, s34
	s_and_not1_b32 s4, s35, exec_lo
	s_and_b32 s35, s36, exec_lo
	s_delay_alu instid0(SALU_CYCLE_1)
	s_or_b32 s35, s4, s35
	s_and_not1_b32 exec_lo, exec_lo, s34
	s_cbranch_execz .LBB28_52
.LBB28_46:                              ;   Parent Loop BB28_9 Depth=1
                                        ; =>  This Inner Loop Header: Depth=2
	v_ashrrev_i32_e32 v8, 31, v7
	s_delay_alu instid0(VALU_DEP_1) | instskip(NEXT) | instid1(VALU_DEP_1)
	v_lshlrev_b64 v[8:9], 3, v[7:8]
	v_add_co_u32 v8, vcc_lo, s24, v8
	s_delay_alu instid0(VALU_DEP_2) | instskip(SKIP_4) | instid1(VALU_DEP_1)
	v_add_co_ci_u32_e32 v9, vcc_lo, s25, v9, vcc_lo
	global_load_b64 v[8:9], v[8:9], off
	s_waitcnt vmcnt(0)
	v_sub_co_u32 v8, vcc_lo, v8, s18
	v_subrev_co_ci_u32_e32 v9, vcc_lo, 0, v9, vcc_lo
	v_cmp_lt_i64_e32 vcc_lo, v[8:9], v[3:4]
	v_cmp_lt_i64_e64 s4, v[8:9], v[1:2]
	s_xor_b32 s37, vcc_lo, -1
	s_delay_alu instid0(VALU_DEP_1) | instid1(SALU_CYCLE_1)
	s_or_b32 s38, s4, s37
	s_mov_b32 s4, 0
                                        ; implicit-def: $sgpr37
	s_and_saveexec_b32 s39, s38
	s_delay_alu instid0(SALU_CYCLE_1)
	s_xor_b32 s38, exec_lo, s39
; %bb.47:                               ;   in Loop: Header=BB28_46 Depth=2
	s_mov_b32 s37, -1
	s_and_b32 s4, vcc_lo, exec_lo
; %bb.48:                               ;   in Loop: Header=BB28_46 Depth=2
	s_and_not1_saveexec_b32 s38, s38
	s_cbranch_execz .LBB28_50
; %bb.49:                               ;   in Loop: Header=BB28_46 Depth=2
	v_sub_nc_u32_e32 v10, v8, v1
	s_or_b32 s4, s4, exec_lo
	ds_store_b8 v10, v23
.LBB28_50:                              ;   in Loop: Header=BB28_46 Depth=2
	s_or_b32 exec_lo, exec_lo, s38
	s_delay_alu instid0(SALU_CYCLE_1)
	s_and_not1_b32 s36, s36, exec_lo
	s_and_b32 s38, s37, exec_lo
	s_mov_b32 s37, -1
	s_or_b32 s36, s36, s38
	s_and_saveexec_b32 s38, s4
	s_cbranch_execz .LBB28_45
; %bb.51:                               ;   in Loop: Header=BB28_46 Depth=2
	v_add_nc_u32_e32 v7, 0x200, v7
	s_and_not1_b32 s36, s36, exec_lo
	s_delay_alu instid0(VALU_DEP_1)
	v_cmp_le_i32_e32 vcc_lo, s33, v7
	s_or_not1_b32 s37, vcc_lo, exec_lo
	s_branch .LBB28_45
.LBB28_52:                              ;   in Loop: Header=BB28_9 Depth=1
	s_or_b32 exec_lo, exec_lo, s34
	s_and_saveexec_b32 s4, s35
	s_delay_alu instid0(SALU_CYCLE_1)
	s_xor_b32 s4, exec_lo, s4
; %bb.53:                               ;   in Loop: Header=BB28_9 Depth=1
	v_cmp_lt_i64_e32 vcc_lo, v[8:9], v[5:6]
	v_dual_cndmask_b32 v6, v6, v9 :: v_dual_cndmask_b32 v5, v5, v8
; %bb.54:                               ;   in Loop: Header=BB28_9 Depth=1
	s_or_b32 exec_lo, exec_lo, s4
.LBB28_55:                              ;   in Loop: Header=BB28_9 Depth=1
	s_delay_alu instid0(SALU_CYCLE_1)
	s_or_b32 exec_lo, exec_lo, s5
.LBB28_56:                              ;   in Loop: Header=BB28_9 Depth=1
	ds_bpermute_b32 v1, v17, v5
	ds_bpermute_b32 v2, v17, v6
	s_waitcnt lgkmcnt(0)
	v_cmp_lt_i64_e32 vcc_lo, v[1:2], v[5:6]
	v_dual_cndmask_b32 v2, v6, v2 :: v_dual_cndmask_b32 v1, v5, v1
	ds_bpermute_b32 v4, v18, v2
	ds_bpermute_b32 v3, v18, v1
	s_waitcnt lgkmcnt(0)
	v_cmp_lt_i64_e32 vcc_lo, v[3:4], v[1:2]
	v_dual_cndmask_b32 v2, v2, v4 :: v_dual_cndmask_b32 v1, v1, v3
	;; [unrolled: 5-line block ×3, first 2 shown]
	ds_bpermute_b32 v4, v20, v2
	ds_bpermute_b32 v3, v20, v1
	s_and_saveexec_b32 s33, s3
	s_cbranch_execz .LBB28_61
; %bb.57:                               ;   in Loop: Header=BB28_9 Depth=1
	s_waitcnt lgkmcnt(0)
	v_cmp_lt_i64_e32 vcc_lo, v[3:4], v[1:2]
	s_mov_b32 s34, exec_lo
	s_mov_b64 s[4:5], -1
	v_dual_cndmask_b32 v2, v2, v4 :: v_dual_cndmask_b32 v1, v1, v3
.LBB28_58:                              ;   Parent Loop BB28_9 Depth=1
                                        ; =>  This Inner Loop Header: Depth=2
	s_ctz_i32_b32 s35, s34
	s_delay_alu instid0(VALU_DEP_1) | instid1(SALU_CYCLE_1)
	v_readlane_b32 s37, v2, s35
	s_delay_alu instid0(VALU_DEP_2) | instskip(NEXT) | instid1(VALU_DEP_1)
	v_readlane_b32 s36, v1, s35
	v_cmp_lt_u64_e64 s38, s[4:5], s[36:37]
	s_delay_alu instid0(VALU_DEP_1) | instskip(SKIP_3) | instid1(SALU_CYCLE_1)
	s_and_b32 s38, s38, exec_lo
	s_cselect_b32 s5, s5, s37
	s_cselect_b32 s4, s4, s36
	s_lshl_b32 s35, 1, s35
	s_and_not1_b32 s34, s34, s35
	s_delay_alu instid0(SALU_CYCLE_1)
	s_cmp_lg_u32 s34, 0
	s_cbranch_scc1 .LBB28_58
; %bb.59:                               ;   in Loop: Header=BB28_9 Depth=1
	v_mbcnt_lo_u32_b32 v1, exec_lo, 0
	s_mov_b32 s34, exec_lo
	s_delay_alu instid0(VALU_DEP_1)
	v_cmpx_eq_u32_e32 0, v1
	s_xor_b32 s34, exec_lo, s34
	s_cbranch_execz .LBB28_61
; %bb.60:                               ;   in Loop: Header=BB28_9 Depth=1
	v_dual_mov_b32 v1, s4 :: v_dual_mov_b32 v2, s5
	ds_min_u64 v22, v[1:2] offset:2048
.LBB28_61:                              ;   in Loop: Header=BB28_9 Depth=1
	s_or_b32 exec_lo, exec_lo, s33
	v_mov_b32_e32 v1, 0
	s_waitcnt lgkmcnt(0)
	v_dual_mov_b32 v2, 0 :: v_dual_mov_b32 v3, v21
	s_mov_b32 s5, 0
	s_waitcnt_vscnt null, 0x0
	s_barrier
	buffer_gl0_inv
.LBB28_62:                              ;   Parent Loop BB28_9 Depth=1
                                        ; =>  This Inner Loop Header: Depth=2
	ds_load_u8 v4, v3 offset:512
	v_add_nc_u32_e32 v3, 0x200, v3
	s_delay_alu instid0(VALU_DEP_1) | instskip(SKIP_3) | instid1(VALU_DEP_1)
	v_cmp_lt_u32_e32 vcc_lo, 0x5ff, v3
	s_or_b32 s5, vcc_lo, s5
	s_waitcnt lgkmcnt(0)
	v_and_b32_e32 v4, 0xffff, v4
	v_add_co_u32 v1, s4, v1, v4
	s_delay_alu instid0(VALU_DEP_1)
	v_add_co_ci_u32_e64 v2, s4, 0, v2, s4
	s_and_not1_b32 exec_lo, exec_lo, s5
	s_cbranch_execnz .LBB28_62
; %bb.63:                               ;   in Loop: Header=BB28_9 Depth=1
	s_or_b32 exec_lo, exec_lo, s5
	ds_bpermute_b32 v3, v17, v1
	ds_bpermute_b32 v4, v17, v2
	s_waitcnt lgkmcnt(1)
	v_add_co_u32 v1, vcc_lo, v1, v3
	v_add_co_ci_u32_e32 v2, vcc_lo, 0, v2, vcc_lo
	ds_bpermute_b32 v3, v18, v1
	v_add_co_u32 v1, vcc_lo, 0, v1
	s_waitcnt lgkmcnt(1)
	v_add_co_ci_u32_e32 v2, vcc_lo, v4, v2, vcc_lo
	ds_bpermute_b32 v4, v18, v2
	s_waitcnt lgkmcnt(1)
	v_add_co_u32 v1, vcc_lo, v1, v3
	v_add_co_ci_u32_e32 v2, vcc_lo, 0, v2, vcc_lo
	ds_bpermute_b32 v3, v19, v1
	v_add_co_u32 v1, vcc_lo, v1, 0
	s_waitcnt lgkmcnt(1)
	v_add_co_ci_u32_e32 v2, vcc_lo, v2, v4, vcc_lo
	ds_bpermute_b32 v4, v19, v2
	s_waitcnt lgkmcnt(1)
	v_add_co_u32 v5, vcc_lo, v1, v3
	v_add_co_ci_u32_e32 v2, vcc_lo, 0, v2, vcc_lo
	s_delay_alu instid0(VALU_DEP_2) | instskip(SKIP_1) | instid1(VALU_DEP_2)
	v_add_co_u32 v1, vcc_lo, v5, 0
	s_waitcnt lgkmcnt(0)
	v_add_co_ci_u32_e32 v3, vcc_lo, v2, v4, vcc_lo
	ds_bpermute_b32 v4, v20, v5
	ds_bpermute_b32 v2, v20, v3
	s_and_saveexec_b32 s33, s3
	s_cbranch_execz .LBB28_8
; %bb.64:                               ;   in Loop: Header=BB28_9 Depth=1
	s_waitcnt lgkmcnt(1)
	v_add_co_u32 v1, vcc_lo, v1, v4
	v_add_co_ci_u32_e32 v3, vcc_lo, 0, v3, vcc_lo
	s_mov_b32 s34, exec_lo
	s_delay_alu instid0(VALU_DEP_2) | instskip(SKIP_1) | instid1(VALU_DEP_2)
	v_add_co_u32 v1, vcc_lo, v1, 0
	s_waitcnt lgkmcnt(0)
	v_add_co_ci_u32_e32 v2, vcc_lo, v3, v2, vcc_lo
	s_mov_b64 s[4:5], 0
.LBB28_65:                              ;   Parent Loop BB28_9 Depth=1
                                        ; =>  This Inner Loop Header: Depth=2
	s_ctz_i32_b32 s35, s34
	s_delay_alu instid0(SALU_CYCLE_1) | instskip(NEXT) | instid1(VALU_DEP_2)
	v_readlane_b32 s36, v1, s35
	v_readlane_b32 s37, v2, s35
	s_delay_alu instid0(VALU_DEP_2) | instskip(NEXT) | instid1(VALU_DEP_1)
	s_add_u32 s4, s4, s36
	s_addc_u32 s5, s5, s37
	s_lshl_b32 s35, 1, s35
	s_delay_alu instid0(SALU_CYCLE_1) | instskip(NEXT) | instid1(SALU_CYCLE_1)
	s_and_not1_b32 s34, s34, s35
	s_cmp_lg_u32 s34, 0
	s_cbranch_scc1 .LBB28_65
; %bb.66:                               ;   in Loop: Header=BB28_9 Depth=1
	v_mbcnt_lo_u32_b32 v1, exec_lo, 0
	s_mov_b32 s34, exec_lo
	s_delay_alu instid0(VALU_DEP_1)
	v_cmpx_eq_u32_e32 0, v1
	s_xor_b32 s34, exec_lo, s34
	s_cbranch_execz .LBB28_8
; %bb.67:                               ;   in Loop: Header=BB28_9 Depth=1
	v_dual_mov_b32 v1, s4 :: v_dual_mov_b32 v2, s5
	ds_add_u64 v22, v[1:2] offset:2056
	s_branch .LBB28_8
.LBB28_68:
	s_and_saveexec_b32 s3, s2
	s_cbranch_execz .LBB28_70
; %bb.69:
	v_mov_b32_e32 v0, 0
	s_load_b64 s[0:1], s[0:1], 0x48
	s_lshl_b64 s[2:3], s[6:7], 2
	ds_load_b32 v1, v0 offset:2056
	s_waitcnt lgkmcnt(0)
	s_add_u32 s0, s0, s2
	s_addc_u32 s1, s1, s3
	global_store_b32 v0, v1, s[0:1]
.LBB28_70:
	s_nop 0
	s_sendmsg sendmsg(MSG_DEALLOC_VGPRS)
	s_endpgm
	.section	.rodata,"a",@progbits
	.p2align	6, 0x0
	.amdhsa_kernel _ZN9rocsparseL35csrgemm_nnz_block_per_row_multipassILj512ELj16ELj2048EilEEvT3_PKS1_S3_PKT2_S3_S6_S3_S6_S3_PS4_S7_21rocsparse_index_base_S8_S8_bb
		.amdhsa_group_segment_fixed_size 2064
		.amdhsa_private_segment_fixed_size 0
		.amdhsa_kernarg_size 104
		.amdhsa_user_sgpr_count 15
		.amdhsa_user_sgpr_dispatch_ptr 0
		.amdhsa_user_sgpr_queue_ptr 0
		.amdhsa_user_sgpr_kernarg_segment_ptr 1
		.amdhsa_user_sgpr_dispatch_id 0
		.amdhsa_user_sgpr_private_segment_size 0
		.amdhsa_wavefront_size32 1
		.amdhsa_uses_dynamic_stack 0
		.amdhsa_enable_private_segment 0
		.amdhsa_system_sgpr_workgroup_id_x 1
		.amdhsa_system_sgpr_workgroup_id_y 0
		.amdhsa_system_sgpr_workgroup_id_z 0
		.amdhsa_system_sgpr_workgroup_info 0
		.amdhsa_system_vgpr_workitem_id 0
		.amdhsa_next_free_vgpr 27
		.amdhsa_next_free_sgpr 42
		.amdhsa_reserve_vcc 1
		.amdhsa_float_round_mode_32 0
		.amdhsa_float_round_mode_16_64 0
		.amdhsa_float_denorm_mode_32 3
		.amdhsa_float_denorm_mode_16_64 3
		.amdhsa_dx10_clamp 1
		.amdhsa_ieee_mode 1
		.amdhsa_fp16_overflow 0
		.amdhsa_workgroup_processor_mode 1
		.amdhsa_memory_ordered 1
		.amdhsa_forward_progress 0
		.amdhsa_shared_vgpr_count 0
		.amdhsa_exception_fp_ieee_invalid_op 0
		.amdhsa_exception_fp_denorm_src 0
		.amdhsa_exception_fp_ieee_div_zero 0
		.amdhsa_exception_fp_ieee_overflow 0
		.amdhsa_exception_fp_ieee_underflow 0
		.amdhsa_exception_fp_ieee_inexact 0
		.amdhsa_exception_int_div_zero 0
	.end_amdhsa_kernel
	.section	.text._ZN9rocsparseL35csrgemm_nnz_block_per_row_multipassILj512ELj16ELj2048EilEEvT3_PKS1_S3_PKT2_S3_S6_S3_S6_S3_PS4_S7_21rocsparse_index_base_S8_S8_bb,"axG",@progbits,_ZN9rocsparseL35csrgemm_nnz_block_per_row_multipassILj512ELj16ELj2048EilEEvT3_PKS1_S3_PKT2_S3_S6_S3_S6_S3_PS4_S7_21rocsparse_index_base_S8_S8_bb,comdat
.Lfunc_end28:
	.size	_ZN9rocsparseL35csrgemm_nnz_block_per_row_multipassILj512ELj16ELj2048EilEEvT3_PKS1_S3_PKT2_S3_S6_S3_S6_S3_PS4_S7_21rocsparse_index_base_S8_S8_bb, .Lfunc_end28-_ZN9rocsparseL35csrgemm_nnz_block_per_row_multipassILj512ELj16ELj2048EilEEvT3_PKS1_S3_PKT2_S3_S6_S3_S6_S3_PS4_S7_21rocsparse_index_base_S8_S8_bb
                                        ; -- End function
	.section	.AMDGPU.csdata,"",@progbits
; Kernel info:
; codeLenInByte = 2596
; NumSgprs: 44
; NumVgprs: 27
; ScratchSize: 0
; MemoryBound: 0
; FloatMode: 240
; IeeeMode: 1
; LDSByteSize: 2064 bytes/workgroup (compile time only)
; SGPRBlocks: 5
; VGPRBlocks: 3
; NumSGPRsForWavesPerEU: 44
; NumVGPRsForWavesPerEU: 27
; Occupancy: 16
; WaveLimiterHint : 1
; COMPUTE_PGM_RSRC2:SCRATCH_EN: 0
; COMPUTE_PGM_RSRC2:USER_SGPR: 15
; COMPUTE_PGM_RSRC2:TRAP_HANDLER: 0
; COMPUTE_PGM_RSRC2:TGID_X_EN: 1
; COMPUTE_PGM_RSRC2:TGID_Y_EN: 0
; COMPUTE_PGM_RSRC2:TGID_Z_EN: 0
; COMPUTE_PGM_RSRC2:TIDIG_COMP_CNT: 0
	.section	.text._ZN9rocsparseL29csrgemm_intermediate_productsILj256ELj8EliEEvT2_PKT1_PKS1_S4_S4_PS2_21rocsparse_index_base_bb,"axG",@progbits,_ZN9rocsparseL29csrgemm_intermediate_productsILj256ELj8EliEEvT2_PKT1_PKS1_S4_S4_PS2_21rocsparse_index_base_bb,comdat
	.globl	_ZN9rocsparseL29csrgemm_intermediate_productsILj256ELj8EliEEvT2_PKT1_PKS1_S4_S4_PS2_21rocsparse_index_base_bb ; -- Begin function _ZN9rocsparseL29csrgemm_intermediate_productsILj256ELj8EliEEvT2_PKT1_PKS1_S4_S4_PS2_21rocsparse_index_base_bb
	.p2align	8
	.type	_ZN9rocsparseL29csrgemm_intermediate_productsILj256ELj8EliEEvT2_PKT1_PKS1_S4_S4_PS2_21rocsparse_index_base_bb,@function
_ZN9rocsparseL29csrgemm_intermediate_productsILj256ELj8EliEEvT2_PKT1_PKS1_S4_S4_PS2_21rocsparse_index_base_bb: ; @_ZN9rocsparseL29csrgemm_intermediate_productsILj256ELj8EliEEvT2_PKT1_PKS1_S4_S4_PS2_21rocsparse_index_base_bb
; %bb.0:
	s_load_b32 s2, s[0:1], 0x0
	v_lshl_or_b32 v1, s15, 8, v0
	s_delay_alu instid0(VALU_DEP_1) | instskip(SKIP_1) | instid1(VALU_DEP_1)
	v_lshrrev_b32_e32 v2, 3, v1
	s_waitcnt lgkmcnt(0)
	v_cmp_gt_i32_e32 vcc_lo, s2, v2
	s_and_saveexec_b32 s2, vcc_lo
	s_cbranch_execz .LBB29_11
; %bb.1:
	s_clause 0x1
	s_load_b64 s[12:13], s[0:1], 0x30
	s_load_b128 s[4:7], s[0:1], 0x20
	v_dual_mov_b32 v0, 0 :: v_dual_and_b32 v9, 7, v0
	v_dual_mov_b32 v1, 0 :: v_dual_lshlrev_b32 v8, 3, v2
	s_waitcnt lgkmcnt(0)
	s_bitcmp0_b32 s13, 0
	s_cbranch_scc1 .LBB29_7
; %bb.2:
	s_load_b64 s[2:3], s[0:1], 0x8
	s_waitcnt lgkmcnt(0)
	global_load_b128 v[0:3], v8, s[2:3]
	v_sub_co_u32 v4, s2, v9, s12
	s_delay_alu instid0(VALU_DEP_1)
	v_sub_co_ci_u32_e64 v5, null, 0, 0, s2
	s_mov_b32 s3, exec_lo
	s_waitcnt vmcnt(0)
	v_sub_co_u32 v2, vcc_lo, v2, s12
	v_subrev_co_ci_u32_e32 v3, vcc_lo, 0, v3, vcc_lo
	v_add_co_u32 v4, vcc_lo, v4, v0
	v_add_co_ci_u32_e32 v5, vcc_lo, v5, v1, vcc_lo
	v_mov_b32_e32 v0, 0
	v_mov_b32_e32 v1, 0
	s_delay_alu instid0(VALU_DEP_3)
	v_cmpx_lt_i64_e64 v[4:5], v[2:3]
	s_cbranch_execz .LBB29_6
; %bb.3:
	s_load_b128 s[8:11], s[0:1], 0x10
	v_lshlrev_b64 v[6:7], 2, v[4:5]
	v_mov_b32_e32 v0, 0
	v_mov_b32_e32 v1, 0
	s_waitcnt lgkmcnt(0)
	s_delay_alu instid0(VALU_DEP_3) | instskip(NEXT) | instid1(VALU_DEP_4)
	v_add_co_u32 v6, vcc_lo, s8, v6
	v_add_co_ci_u32_e32 v7, vcc_lo, s9, v7, vcc_lo
	s_mov_b32 s8, 0
	.p2align	6
.LBB29_4:                               ; =>This Inner Loop Header: Depth=1
	global_load_b32 v10, v[6:7], off
	s_waitcnt vmcnt(0)
	v_subrev_nc_u32_e32 v10, s12, v10
	s_delay_alu instid0(VALU_DEP_1) | instskip(NEXT) | instid1(VALU_DEP_1)
	v_ashrrev_i32_e32 v11, 31, v10
	v_lshlrev_b64 v[10:11], 3, v[10:11]
	s_delay_alu instid0(VALU_DEP_1) | instskip(NEXT) | instid1(VALU_DEP_2)
	v_add_co_u32 v10, vcc_lo, s10, v10
	v_add_co_ci_u32_e32 v11, vcc_lo, s11, v11, vcc_lo
	v_add_co_u32 v4, vcc_lo, v4, 8
	v_add_co_ci_u32_e32 v5, vcc_lo, 0, v5, vcc_lo
	global_load_b128 v[10:13], v[10:11], off
	v_add_co_u32 v6, vcc_lo, v6, 32
	v_add_co_ci_u32_e32 v7, vcc_lo, 0, v7, vcc_lo
	s_waitcnt vmcnt(0)
	v_add_co_u32 v0, vcc_lo, v12, v0
	v_add_co_ci_u32_e32 v1, vcc_lo, v13, v1, vcc_lo
	v_cmp_ge_i64_e32 vcc_lo, v[4:5], v[2:3]
	s_delay_alu instid0(VALU_DEP_3) | instskip(NEXT) | instid1(VALU_DEP_1)
	v_sub_co_u32 v0, s2, v0, v10
	v_sub_co_ci_u32_e64 v1, s2, v1, v11, s2
	s_or_b32 s8, vcc_lo, s8
	s_delay_alu instid0(SALU_CYCLE_1)
	s_and_not1_b32 exec_lo, exec_lo, s8
	s_cbranch_execnz .LBB29_4
; %bb.5:
	s_or_b32 exec_lo, exec_lo, s8
.LBB29_6:
	s_delay_alu instid0(SALU_CYCLE_1) | instskip(SKIP_1) | instid1(VALU_DEP_1)
	s_or_b32 exec_lo, exec_lo, s3
	v_mbcnt_lo_u32_b32 v2, -1, 0
	v_xor_b32_e32 v3, 4, v2
	v_xor_b32_e32 v5, 2, v2
	s_delay_alu instid0(VALU_DEP_2) | instskip(SKIP_1) | instid1(VALU_DEP_3)
	v_cmp_gt_i32_e32 vcc_lo, 32, v3
	v_cndmask_b32_e32 v3, v2, v3, vcc_lo
	v_cmp_gt_i32_e32 vcc_lo, 32, v5
	s_delay_alu instid0(VALU_DEP_2)
	v_lshlrev_b32_e32 v3, 2, v3
	v_cndmask_b32_e32 v5, v2, v5, vcc_lo
	ds_bpermute_b32 v4, v3, v0
	ds_bpermute_b32 v3, v3, v1
	v_lshlrev_b32_e32 v5, 2, v5
	s_waitcnt lgkmcnt(1)
	v_add_co_u32 v0, vcc_lo, v0, v4
	v_add_co_ci_u32_e32 v1, vcc_lo, 0, v1, vcc_lo
	ds_bpermute_b32 v4, v5, v0
	v_add_co_u32 v0, vcc_lo, 0, v0
	s_waitcnt lgkmcnt(1)
	v_add_co_ci_u32_e32 v1, vcc_lo, v3, v1, vcc_lo
	v_xor_b32_e32 v3, 1, v2
	s_delay_alu instid0(VALU_DEP_1)
	v_cmp_gt_i32_e32 vcc_lo, 32, v3
	v_cndmask_b32_e32 v2, v2, v3, vcc_lo
	ds_bpermute_b32 v5, v5, v1
	v_lshlrev_b32_e32 v2, 2, v2
	s_waitcnt lgkmcnt(1)
	v_add_co_u32 v0, vcc_lo, v0, v4
	v_add_co_ci_u32_e32 v1, vcc_lo, 0, v1, vcc_lo
	ds_bpermute_b32 v3, v2, v0
	v_add_co_u32 v0, vcc_lo, v0, 0
	s_waitcnt lgkmcnt(1)
	v_add_co_ci_u32_e32 v1, vcc_lo, v1, v5, vcc_lo
	ds_bpermute_b32 v2, v2, v1
	s_waitcnt lgkmcnt(1)
	v_add_co_u32 v0, vcc_lo, v0, v3
	v_add_co_ci_u32_e32 v1, vcc_lo, 0, v1, vcc_lo
	s_delay_alu instid0(VALU_DEP_2) | instskip(SKIP_1) | instid1(VALU_DEP_2)
	v_add_co_u32 v0, vcc_lo, v0, 0
	s_waitcnt lgkmcnt(0)
	v_add_co_ci_u32_e32 v1, vcc_lo, v1, v2, vcc_lo
.LBB29_7:
	v_cmp_eq_u32_e32 vcc_lo, 7, v9
	s_and_b32 exec_lo, exec_lo, vcc_lo
	s_cbranch_execz .LBB29_11
; %bb.8:
	s_load_b32 s0, s[0:1], 0x34
	s_waitcnt lgkmcnt(0)
	s_bfe_u32 s0, s0, 0x10008
	s_delay_alu instid0(SALU_CYCLE_1)
	s_cmp_eq_u32 s0, 0
	s_cbranch_scc1 .LBB29_10
; %bb.9:
	global_load_b128 v[2:5], v8, s[4:5]
	s_waitcnt vmcnt(0)
	v_add_co_u32 v0, vcc_lo, v4, v0
	v_add_co_ci_u32_e32 v1, vcc_lo, v5, v1, vcc_lo
	s_delay_alu instid0(VALU_DEP_2) | instskip(NEXT) | instid1(VALU_DEP_2)
	v_sub_co_u32 v0, vcc_lo, v0, v2
	v_sub_co_ci_u32_e32 v1, vcc_lo, v1, v3, vcc_lo
.LBB29_10:
	global_store_b64 v8, v[0:1], s[6:7]
.LBB29_11:
	s_nop 0
	s_sendmsg sendmsg(MSG_DEALLOC_VGPRS)
	s_endpgm
	.section	.rodata,"a",@progbits
	.p2align	6, 0x0
	.amdhsa_kernel _ZN9rocsparseL29csrgemm_intermediate_productsILj256ELj8EliEEvT2_PKT1_PKS1_S4_S4_PS2_21rocsparse_index_base_bb
		.amdhsa_group_segment_fixed_size 0
		.amdhsa_private_segment_fixed_size 0
		.amdhsa_kernarg_size 56
		.amdhsa_user_sgpr_count 15
		.amdhsa_user_sgpr_dispatch_ptr 0
		.amdhsa_user_sgpr_queue_ptr 0
		.amdhsa_user_sgpr_kernarg_segment_ptr 1
		.amdhsa_user_sgpr_dispatch_id 0
		.amdhsa_user_sgpr_private_segment_size 0
		.amdhsa_wavefront_size32 1
		.amdhsa_uses_dynamic_stack 0
		.amdhsa_enable_private_segment 0
		.amdhsa_system_sgpr_workgroup_id_x 1
		.amdhsa_system_sgpr_workgroup_id_y 0
		.amdhsa_system_sgpr_workgroup_id_z 0
		.amdhsa_system_sgpr_workgroup_info 0
		.amdhsa_system_vgpr_workitem_id 0
		.amdhsa_next_free_vgpr 14
		.amdhsa_next_free_sgpr 16
		.amdhsa_reserve_vcc 1
		.amdhsa_float_round_mode_32 0
		.amdhsa_float_round_mode_16_64 0
		.amdhsa_float_denorm_mode_32 3
		.amdhsa_float_denorm_mode_16_64 3
		.amdhsa_dx10_clamp 1
		.amdhsa_ieee_mode 1
		.amdhsa_fp16_overflow 0
		.amdhsa_workgroup_processor_mode 1
		.amdhsa_memory_ordered 1
		.amdhsa_forward_progress 0
		.amdhsa_shared_vgpr_count 0
		.amdhsa_exception_fp_ieee_invalid_op 0
		.amdhsa_exception_fp_denorm_src 0
		.amdhsa_exception_fp_ieee_div_zero 0
		.amdhsa_exception_fp_ieee_overflow 0
		.amdhsa_exception_fp_ieee_underflow 0
		.amdhsa_exception_fp_ieee_inexact 0
		.amdhsa_exception_int_div_zero 0
	.end_amdhsa_kernel
	.section	.text._ZN9rocsparseL29csrgemm_intermediate_productsILj256ELj8EliEEvT2_PKT1_PKS1_S4_S4_PS2_21rocsparse_index_base_bb,"axG",@progbits,_ZN9rocsparseL29csrgemm_intermediate_productsILj256ELj8EliEEvT2_PKT1_PKS1_S4_S4_PS2_21rocsparse_index_base_bb,comdat
.Lfunc_end29:
	.size	_ZN9rocsparseL29csrgemm_intermediate_productsILj256ELj8EliEEvT2_PKT1_PKS1_S4_S4_PS2_21rocsparse_index_base_bb, .Lfunc_end29-_ZN9rocsparseL29csrgemm_intermediate_productsILj256ELj8EliEEvT2_PKT1_PKS1_S4_S4_PS2_21rocsparse_index_base_bb
                                        ; -- End function
	.section	.AMDGPU.csdata,"",@progbits
; Kernel info:
; codeLenInByte = 700
; NumSgprs: 18
; NumVgprs: 14
; ScratchSize: 0
; MemoryBound: 1
; FloatMode: 240
; IeeeMode: 1
; LDSByteSize: 0 bytes/workgroup (compile time only)
; SGPRBlocks: 2
; VGPRBlocks: 1
; NumSGPRsForWavesPerEU: 18
; NumVGPRsForWavesPerEU: 14
; Occupancy: 16
; WaveLimiterHint : 1
; COMPUTE_PGM_RSRC2:SCRATCH_EN: 0
; COMPUTE_PGM_RSRC2:USER_SGPR: 15
; COMPUTE_PGM_RSRC2:TRAP_HANDLER: 0
; COMPUTE_PGM_RSRC2:TGID_X_EN: 1
; COMPUTE_PGM_RSRC2:TGID_Y_EN: 0
; COMPUTE_PGM_RSRC2:TGID_Z_EN: 0
; COMPUTE_PGM_RSRC2:TIDIG_COMP_CNT: 0
	.section	.text._ZN9rocsparseL26csrgemm_group_reduce_part1ILj256ELj11EliEEvT2_PT1_PS1_j,"axG",@progbits,_ZN9rocsparseL26csrgemm_group_reduce_part1ILj256ELj11EliEEvT2_PT1_PS1_j,comdat
	.globl	_ZN9rocsparseL26csrgemm_group_reduce_part1ILj256ELj11EliEEvT2_PT1_PS1_j ; -- Begin function _ZN9rocsparseL26csrgemm_group_reduce_part1ILj256ELj11EliEEvT2_PT1_PS1_j
	.p2align	8
	.type	_ZN9rocsparseL26csrgemm_group_reduce_part1ILj256ELj11EliEEvT2_PT1_PS1_j,@function
_ZN9rocsparseL26csrgemm_group_reduce_part1ILj256ELj11EliEEvT2_PT1_PS1_j: ; @_ZN9rocsparseL26csrgemm_group_reduce_part1ILj256ELj11EliEEvT2_PT1_PS1_j
; %bb.0:
	s_clause 0x1
	s_load_b32 s4, s[0:1], 0x0
	s_load_b64 s[2:3], s[0:1], 0x10
	v_mul_u32_u24_e32 v1, 11, v0
	v_mov_b32_e32 v2, 0
	v_lshl_or_b32 v3, s15, 8, v0
	s_mov_b32 s5, 0
	s_mov_b32 s6, exec_lo
	v_lshlrev_b32_e32 v10, 2, v1
	ds_store_2addr_b32 v10, v2, v2 offset1:1
	ds_store_2addr_b32 v10, v2, v2 offset0:2 offset1:3
	ds_store_2addr_b32 v10, v2, v2 offset0:4 offset1:5
	;; [unrolled: 1-line block ×4, first 2 shown]
	ds_store_b32 v10, v2 offset:40
	s_waitcnt lgkmcnt(0)
	buffer_gl0_inv
	v_cmpx_gt_i32_e64 s4, v3
	s_cbranch_execz .LBB30_21
; %bb.1:
	s_clause 0x2
	s_load_b32 s9, s[0:1], 0x18
	s_load_b32 s10, s[0:1], 0x20
	s_load_b64 s[0:1], s[0:1], 0x8
	v_add_nc_u32_e32 v11, 8, v10
	v_add_nc_u32_e32 v12, 16, v10
	;; [unrolled: 1-line block ×10, first 2 shown]
	s_waitcnt lgkmcnt(0)
	s_cmp_lt_u32 s9, 0x10000
	s_cselect_b32 s7, -1, 0
	s_cmp_lt_u32 s9, 0x20000
	s_cselect_b32 s8, -1, 0
	;; [unrolled: 2-line block ×3, first 2 shown]
	s_lshl_b32 s10, s10, 8
	s_branch .LBB30_11
.LBB30_2:                               ;   in Loop: Header=BB30_11 Depth=1
	s_or_b32 exec_lo, exec_lo, s20
.LBB30_3:                               ;   in Loop: Header=BB30_11 Depth=1
	s_delay_alu instid0(SALU_CYCLE_1)
	s_or_b32 exec_lo, exec_lo, s19
.LBB30_4:                               ;   in Loop: Header=BB30_11 Depth=1
	s_delay_alu instid0(SALU_CYCLE_1)
	s_or_b32 exec_lo, exec_lo, s18
.LBB30_5:                               ;   in Loop: Header=BB30_11 Depth=1
	s_delay_alu instid0(SALU_CYCLE_1)
	s_or_b32 exec_lo, exec_lo, s17
.LBB30_6:                               ;   in Loop: Header=BB30_11 Depth=1
	s_delay_alu instid0(SALU_CYCLE_1)
	s_or_b32 exec_lo, exec_lo, s16
.LBB30_7:                               ;   in Loop: Header=BB30_11 Depth=1
	s_delay_alu instid0(SALU_CYCLE_1)
	s_or_b32 exec_lo, exec_lo, s14
.LBB30_8:                               ;   in Loop: Header=BB30_11 Depth=1
	s_delay_alu instid0(SALU_CYCLE_1)
	s_or_b32 exec_lo, exec_lo, s13
.LBB30_9:                               ;   in Loop: Header=BB30_11 Depth=1
	s_delay_alu instid0(SALU_CYCLE_1)
	s_or_b32 exec_lo, exec_lo, s12
.LBB30_10:                              ;   in Loop: Header=BB30_11 Depth=1
	s_delay_alu instid0(SALU_CYCLE_1)
	s_or_b32 exec_lo, exec_lo, s11
	ds_load_b32 v1, v21
	v_add_nc_u32_e32 v3, s10, v3
	global_store_b64 v[4:5], v[6:7], off
	v_cmp_le_i32_e32 vcc_lo, s4, v3
	s_or_b32 s5, vcc_lo, s5
	s_waitcnt lgkmcnt(0)
	v_add_nc_u32_e32 v1, 1, v1
	ds_store_b32 v21, v1
	s_and_not1_b32 exec_lo, exec_lo, s5
	s_cbranch_execz .LBB30_21
.LBB30_11:                              ; =>This Inner Loop Header: Depth=1
	v_ashrrev_i32_e32 v4, 31, v3
	v_dual_mov_b32 v6, 0 :: v_dual_mov_b32 v21, v10
	v_mov_b32_e32 v7, 0
	s_mov_b32 s11, exec_lo
	s_delay_alu instid0(VALU_DEP_3) | instskip(NEXT) | instid1(VALU_DEP_1)
	v_lshlrev_b64 v[4:5], 3, v[3:4]
	v_add_co_u32 v4, vcc_lo, s0, v4
	s_delay_alu instid0(VALU_DEP_2)
	v_add_co_ci_u32_e32 v5, vcc_lo, s1, v5, vcc_lo
	global_load_b64 v[8:9], v[4:5], off
	s_waitcnt vmcnt(0)
	v_cmpx_lt_i64_e32 32, v[8:9]
	s_cbranch_execz .LBB30_10
; %bb.12:                               ;   in Loop: Header=BB30_11 Depth=1
	v_dual_mov_b32 v6, 1 :: v_dual_mov_b32 v21, v16
	v_mov_b32_e32 v7, 0
	s_mov_b32 s12, exec_lo
	v_cmpx_lt_u64_e32 64, v[8:9]
	s_cbranch_execz .LBB30_9
; %bb.13:                               ;   in Loop: Header=BB30_11 Depth=1
	v_dual_mov_b32 v6, 2 :: v_dual_mov_b32 v21, v11
	v_mov_b32_e32 v7, 0
	s_mov_b32 s13, exec_lo
	v_cmpx_lt_u64_e32 0x200, v[8:9]
	;; [unrolled: 6-line block ×6, first 2 shown]
	s_cbranch_execz .LBB30_4
; %bb.18:                               ;   in Loop: Header=BB30_11 Depth=1
	v_cmp_lt_u64_e32 vcc_lo, 0x4000, v[8:9]
	v_dual_mov_b32 v6, 7 :: v_dual_mov_b32 v21, v19
	v_mov_b32_e32 v7, 0
	s_or_b32 s20, s7, vcc_lo
	s_delay_alu instid0(SALU_CYCLE_1)
	s_and_saveexec_b32 s19, s20
	s_cbranch_execz .LBB30_3
; %bb.19:                               ;   in Loop: Header=BB30_11 Depth=1
	v_cmp_lt_u64_e32 vcc_lo, 0x8000, v[8:9]
	v_dual_mov_b32 v6, 8 :: v_dual_mov_b32 v21, v14
	v_mov_b32_e32 v7, 0
	s_or_b32 s21, s8, vcc_lo
	s_delay_alu instid0(SALU_CYCLE_1)
	s_and_saveexec_b32 s20, s21
	s_cbranch_execz .LBB30_2
; %bb.20:                               ;   in Loop: Header=BB30_11 Depth=1
	v_cmp_lt_u64_e32 vcc_lo, 0x10000, v[8:9]
	s_or_b32 vcc_lo, s9, vcc_lo
	s_delay_alu instid0(SALU_CYCLE_1) | instskip(SKIP_1) | instid1(VALU_DEP_2)
	v_cndmask_b32_e64 v1, 9, 10, vcc_lo
	v_mov_b32_e32 v7, v2
	v_dual_cndmask_b32 v21, v20, v15 :: v_dual_mov_b32 v6, v1
	s_branch .LBB30_2
.LBB30_21:
	s_or_b32 exec_lo, exec_lo, s6
	s_delay_alu instid0(SALU_CYCLE_1)
	s_mov_b32 s0, exec_lo
	s_waitcnt lgkmcnt(0)
	s_waitcnt_vscnt null, 0x0
	s_barrier
	buffer_gl0_inv
	s_barrier
	buffer_gl0_inv
	;; [unrolled: 2-line block ×3, first 2 shown]
	v_cmpx_gt_u32_e32 0x80, v0
	s_cbranch_execz .LBB30_23
; %bb.22:
	v_add_nc_u32_e32 v1, 0x1600, v10
	v_add_nc_u32_e32 v3, 0x1608, v10
	;; [unrolled: 1-line block ×5, first 2 shown]
	ds_load_2addr_b32 v[1:2], v1 offset1:1
	ds_load_2addr_b32 v[3:4], v3 offset1:1
	;; [unrolled: 1-line block ×4, first 2 shown]
	ds_load_2addr_b32 v[11:12], v10 offset0:2 offset1:3
	ds_load_2addr_b32 v[13:14], v10 offset0:4 offset1:5
	;; [unrolled: 1-line block ×3, first 2 shown]
	v_add_nc_u32_e32 v23, 40, v10
	ds_load_2addr_b32 v[17:18], v9 offset1:1
	ds_load_2addr_b32 v[19:20], v19 offset1:1
	ds_load_2addr_b32 v[21:22], v10 offset0:8 offset1:9
	ds_load_2addr_stride64_b32 v[23:24], v23 offset1:22
	s_waitcnt lgkmcnt(6)
	v_add_nc_u32_e32 v3, v11, v3
	v_add_nc_u32_e32 v1, v7, v1
	;; [unrolled: 1-line block ×4, first 2 shown]
	s_waitcnt lgkmcnt(5)
	v_add_nc_u32_e32 v5, v13, v5
	v_add_nc_u32_e32 v6, v14, v6
	s_waitcnt lgkmcnt(3)
	v_add_nc_u32_e32 v7, v15, v17
	v_add_nc_u32_e32 v8, v16, v18
	;; [unrolled: 3-line block ×3, first 2 shown]
	s_waitcnt lgkmcnt(0)
	v_add_nc_u32_e32 v12, v23, v24
	ds_store_2addr_b32 v10, v1, v2 offset1:1
	ds_store_2addr_b32 v10, v3, v4 offset0:2 offset1:3
	ds_store_2addr_b32 v10, v5, v6 offset0:4 offset1:5
	;; [unrolled: 1-line block ×4, first 2 shown]
	ds_store_b32 v10, v12 offset:40
.LBB30_23:
	s_or_b32 exec_lo, exec_lo, s0
	s_delay_alu instid0(SALU_CYCLE_1)
	s_mov_b32 s0, exec_lo
	s_waitcnt lgkmcnt(0)
	s_barrier
	buffer_gl0_inv
	v_cmpx_gt_u32_e32 64, v0
	s_cbranch_execz .LBB30_25
; %bb.24:
	v_add_nc_u32_e32 v1, 0xb00, v10
	v_add_nc_u32_e32 v3, 0xb08, v10
	;; [unrolled: 1-line block ×5, first 2 shown]
	ds_load_2addr_b32 v[1:2], v1 offset1:1
	ds_load_2addr_b32 v[3:4], v3 offset1:1
	;; [unrolled: 1-line block ×4, first 2 shown]
	ds_load_2addr_b32 v[11:12], v10 offset0:2 offset1:3
	ds_load_2addr_b32 v[13:14], v10 offset0:4 offset1:5
	;; [unrolled: 1-line block ×3, first 2 shown]
	v_add_nc_u32_e32 v23, 40, v10
	ds_load_2addr_b32 v[17:18], v9 offset1:1
	ds_load_2addr_b32 v[19:20], v19 offset1:1
	ds_load_2addr_b32 v[21:22], v10 offset0:8 offset1:9
	ds_load_2addr_stride64_b32 v[23:24], v23 offset1:11
	s_waitcnt lgkmcnt(6)
	v_add_nc_u32_e32 v3, v11, v3
	v_add_nc_u32_e32 v1, v7, v1
	;; [unrolled: 1-line block ×4, first 2 shown]
	s_waitcnt lgkmcnt(5)
	v_add_nc_u32_e32 v5, v13, v5
	v_add_nc_u32_e32 v6, v14, v6
	s_waitcnt lgkmcnt(3)
	v_add_nc_u32_e32 v7, v15, v17
	v_add_nc_u32_e32 v8, v16, v18
	;; [unrolled: 3-line block ×3, first 2 shown]
	s_waitcnt lgkmcnt(0)
	v_add_nc_u32_e32 v12, v23, v24
	ds_store_2addr_b32 v10, v1, v2 offset1:1
	ds_store_2addr_b32 v10, v3, v4 offset0:2 offset1:3
	ds_store_2addr_b32 v10, v5, v6 offset0:4 offset1:5
	;; [unrolled: 1-line block ×4, first 2 shown]
	ds_store_b32 v10, v12 offset:40
.LBB30_25:
	s_or_b32 exec_lo, exec_lo, s0
	s_delay_alu instid0(SALU_CYCLE_1)
	s_mov_b32 s0, exec_lo
	s_waitcnt lgkmcnt(0)
	s_barrier
	buffer_gl0_inv
	v_cmpx_gt_u32_e32 32, v0
	s_cbranch_execz .LBB30_27
; %bb.26:
	v_add_nc_u32_e32 v5, 0x580, v10
	v_add_nc_u32_e32 v7, 0x588, v10
	ds_load_2addr_b32 v[1:2], v10 offset1:1
	ds_load_2addr_b32 v[3:4], v10 offset0:2 offset1:3
	v_add_nc_u32_e32 v9, 0x590, v10
	v_add_nc_u32_e32 v17, 0x598, v10
	ds_load_2addr_b32 v[5:6], v5 offset1:1
	v_add_nc_u32_e32 v19, 0x5a0, v10
	ds_load_2addr_b32 v[7:8], v7 offset1:1
	ds_load_2addr_b32 v[11:12], v9 offset1:1
	ds_load_2addr_b32 v[13:14], v10 offset0:4 offset1:5
	ds_load_2addr_b32 v[15:16], v10 offset0:6 offset1:7
	ds_load_2addr_b32 v[17:18], v17 offset1:1
	ds_load_2addr_b32 v[19:20], v19 offset1:1
	ds_load_2addr_b32 v[21:22], v10 offset0:8 offset1:9
	ds_load_b32 v9, v10 offset:1448
	ds_load_b32 v23, v10 offset:40
	s_waitcnt lgkmcnt(8)
	v_add_nc_u32_e32 v3, v3, v7
	v_add_nc_u32_e32 v4, v4, v8
	s_waitcnt lgkmcnt(4)
	v_add_nc_u32_e32 v7, v15, v17
	v_add_nc_u32_e32 v1, v1, v5
	;; [unrolled: 1-line block ×6, first 2 shown]
	s_waitcnt lgkmcnt(2)
	v_add_nc_u32_e32 v11, v21, v19
	v_add_nc_u32_e32 v12, v22, v20
	s_waitcnt lgkmcnt(0)
	v_add_nc_u32_e32 v9, v23, v9
	ds_store_2addr_b32 v10, v1, v2 offset1:1
	ds_store_2addr_b32 v10, v3, v4 offset0:2 offset1:3
	ds_store_2addr_b32 v10, v5, v6 offset0:4 offset1:5
	;; [unrolled: 1-line block ×4, first 2 shown]
	ds_store_b32 v10, v9 offset:40
.LBB30_27:
	s_or_b32 exec_lo, exec_lo, s0
	s_delay_alu instid0(SALU_CYCLE_1)
	s_mov_b32 s0, exec_lo
	s_waitcnt lgkmcnt(0)
	s_barrier
	buffer_gl0_inv
	v_cmpx_gt_u32_e32 16, v0
	s_cbranch_execz .LBB30_29
; %bb.28:
	ds_load_2addr_b32 v[1:2], v10 offset0:176 offset1:177
	ds_load_2addr_b32 v[3:4], v10 offset1:1
	ds_load_2addr_b32 v[5:6], v10 offset0:2 offset1:3
	ds_load_2addr_b32 v[7:8], v10 offset0:178 offset1:179
	ds_load_2addr_b32 v[11:12], v10 offset0:180 offset1:181
	ds_load_2addr_b32 v[13:14], v10 offset0:4 offset1:5
	ds_load_2addr_b32 v[15:16], v10 offset0:6 offset1:7
	ds_load_2addr_b32 v[17:18], v10 offset0:182 offset1:183
	ds_load_2addr_b32 v[19:20], v10 offset0:184 offset1:185
	ds_load_2addr_b32 v[21:22], v10 offset0:8 offset1:9
	ds_load_2addr_b32 v[23:24], v10 offset0:10 offset1:186
	s_waitcnt lgkmcnt(9)
	v_add_nc_u32_e32 v1, v3, v1
	v_add_nc_u32_e32 v2, v4, v2
	s_waitcnt lgkmcnt(7)
	v_add_nc_u32_e32 v3, v5, v7
	v_add_nc_u32_e32 v4, v6, v8
	s_waitcnt lgkmcnt(5)
	v_add_nc_u32_e32 v5, v13, v11
	v_add_nc_u32_e32 v6, v14, v12
	s_waitcnt lgkmcnt(3)
	v_add_nc_u32_e32 v7, v15, v17
	v_add_nc_u32_e32 v8, v16, v18
	s_waitcnt lgkmcnt(1)
	v_add_nc_u32_e32 v9, v21, v19
	v_add_nc_u32_e32 v11, v22, v20
	s_waitcnt lgkmcnt(0)
	v_add_nc_u32_e32 v12, v23, v24
	ds_store_2addr_b32 v10, v1, v2 offset1:1
	ds_store_2addr_b32 v10, v3, v4 offset0:2 offset1:3
	ds_store_2addr_b32 v10, v5, v6 offset0:4 offset1:5
	ds_store_2addr_b32 v10, v7, v8 offset0:6 offset1:7
	ds_store_2addr_b32 v10, v9, v11 offset0:8 offset1:9
	ds_store_b32 v10, v12 offset:40
.LBB30_29:
	s_or_b32 exec_lo, exec_lo, s0
	s_delay_alu instid0(SALU_CYCLE_1)
	s_mov_b32 s0, exec_lo
	s_waitcnt lgkmcnt(0)
	s_barrier
	buffer_gl0_inv
	v_cmpx_gt_u32_e32 8, v0
	s_cbranch_execz .LBB30_31
; %bb.30:
	ds_load_2addr_b32 v[1:2], v10 offset0:88 offset1:89
	ds_load_2addr_b32 v[3:4], v10 offset1:1
	ds_load_2addr_b32 v[5:6], v10 offset0:2 offset1:3
	ds_load_2addr_b32 v[7:8], v10 offset0:90 offset1:91
	ds_load_2addr_b32 v[11:12], v10 offset0:92 offset1:93
	ds_load_2addr_b32 v[13:14], v10 offset0:4 offset1:5
	ds_load_2addr_b32 v[15:16], v10 offset0:6 offset1:7
	ds_load_2addr_b32 v[17:18], v10 offset0:94 offset1:95
	ds_load_2addr_b32 v[19:20], v10 offset0:96 offset1:97
	ds_load_2addr_b32 v[21:22], v10 offset0:8 offset1:9
	ds_load_2addr_b32 v[23:24], v10 offset0:10 offset1:98
	s_waitcnt lgkmcnt(9)
	v_add_nc_u32_e32 v1, v3, v1
	v_add_nc_u32_e32 v2, v4, v2
	s_waitcnt lgkmcnt(7)
	v_add_nc_u32_e32 v3, v5, v7
	v_add_nc_u32_e32 v4, v6, v8
	s_waitcnt lgkmcnt(5)
	v_add_nc_u32_e32 v5, v13, v11
	v_add_nc_u32_e32 v6, v14, v12
	s_waitcnt lgkmcnt(3)
	v_add_nc_u32_e32 v7, v15, v17
	v_add_nc_u32_e32 v8, v16, v18
	s_waitcnt lgkmcnt(1)
	v_add_nc_u32_e32 v9, v21, v19
	v_add_nc_u32_e32 v11, v22, v20
	s_waitcnt lgkmcnt(0)
	v_add_nc_u32_e32 v12, v23, v24
	ds_store_2addr_b32 v10, v1, v2 offset1:1
	ds_store_2addr_b32 v10, v3, v4 offset0:2 offset1:3
	ds_store_2addr_b32 v10, v5, v6 offset0:4 offset1:5
	ds_store_2addr_b32 v10, v7, v8 offset0:6 offset1:7
	ds_store_2addr_b32 v10, v9, v11 offset0:8 offset1:9
	ds_store_b32 v10, v12 offset:40
.LBB30_31:
	;; [unrolled: 44-line block ×4, first 2 shown]
	s_or_b32 exec_lo, exec_lo, s0
	s_delay_alu instid0(SALU_CYCLE_1)
	s_mov_b32 s0, exec_lo
	s_waitcnt lgkmcnt(0)
	s_barrier
	buffer_gl0_inv
	v_cmpx_eq_u32_e32 0, v0
	s_cbranch_execz .LBB30_37
; %bb.36:
	v_mov_b32_e32 v23, 0
	ds_load_b128 v[1:4], v23
	ds_load_b128 v[5:8], v23 offset:32
	ds_load_b128 v[9:12], v23 offset:48
	ds_load_b128 v[13:16], v23 offset:16
	ds_load_b128 v[17:20], v23 offset:64
	ds_load_b64 v[21:22], v23 offset:80
	s_waitcnt lgkmcnt(4)
	v_add_nc_u32_e32 v1, v1, v8
	s_waitcnt lgkmcnt(3)
	v_add_nc_u32_e32 v2, v2, v9
	v_add_nc_u32_e32 v3, v3, v10
	;; [unrolled: 1-line block ×3, first 2 shown]
	s_waitcnt lgkmcnt(2)
	v_add_nc_u32_e32 v8, v13, v12
	s_waitcnt lgkmcnt(1)
	v_add_nc_u32_e32 v9, v14, v17
	v_add_nc_u32_e32 v10, v15, v18
	;; [unrolled: 1-line block ×4, first 2 shown]
	s_waitcnt lgkmcnt(0)
	v_add_nc_u32_e32 v6, v6, v21
	v_add_nc_u32_e32 v7, v7, v22
	ds_store_b128 v23, v[1:4]
	ds_store_b128 v23, v[8:11] offset:16
	ds_store_b96 v23, v[5:7] offset:32
.LBB30_37:
	s_or_b32 exec_lo, exec_lo, s0
	s_waitcnt lgkmcnt(0)
	s_barrier
	buffer_gl0_inv
	s_mov_b32 s0, exec_lo
	v_cmpx_gt_u32_e32 11, v0
	s_cbranch_execz .LBB30_39
; %bb.38:
	v_lshlrev_b32_e32 v3, 2, v0
	v_mad_u64_u32 v[1:2], null, s15, 11, v[0:1]
	v_mov_b32_e32 v2, 0
	ds_load_b32 v3, v3
	v_lshlrev_b64 v[0:1], 2, v[1:2]
	s_delay_alu instid0(VALU_DEP_1) | instskip(NEXT) | instid1(VALU_DEP_2)
	v_add_co_u32 v0, vcc_lo, s2, v0
	v_add_co_ci_u32_e32 v1, vcc_lo, s3, v1, vcc_lo
	s_waitcnt lgkmcnt(0)
	global_store_b32 v[0:1], v3, off
.LBB30_39:
	s_nop 0
	s_sendmsg sendmsg(MSG_DEALLOC_VGPRS)
	s_endpgm
	.section	.rodata,"a",@progbits
	.p2align	6, 0x0
	.amdhsa_kernel _ZN9rocsparseL26csrgemm_group_reduce_part1ILj256ELj11EliEEvT2_PT1_PS1_j
		.amdhsa_group_segment_fixed_size 11264
		.amdhsa_private_segment_fixed_size 0
		.amdhsa_kernarg_size 288
		.amdhsa_user_sgpr_count 15
		.amdhsa_user_sgpr_dispatch_ptr 0
		.amdhsa_user_sgpr_queue_ptr 0
		.amdhsa_user_sgpr_kernarg_segment_ptr 1
		.amdhsa_user_sgpr_dispatch_id 0
		.amdhsa_user_sgpr_private_segment_size 0
		.amdhsa_wavefront_size32 1
		.amdhsa_uses_dynamic_stack 0
		.amdhsa_enable_private_segment 0
		.amdhsa_system_sgpr_workgroup_id_x 1
		.amdhsa_system_sgpr_workgroup_id_y 0
		.amdhsa_system_sgpr_workgroup_id_z 0
		.amdhsa_system_sgpr_workgroup_info 0
		.amdhsa_system_vgpr_workitem_id 0
		.amdhsa_next_free_vgpr 25
		.amdhsa_next_free_sgpr 22
		.amdhsa_reserve_vcc 1
		.amdhsa_float_round_mode_32 0
		.amdhsa_float_round_mode_16_64 0
		.amdhsa_float_denorm_mode_32 3
		.amdhsa_float_denorm_mode_16_64 3
		.amdhsa_dx10_clamp 1
		.amdhsa_ieee_mode 1
		.amdhsa_fp16_overflow 0
		.amdhsa_workgroup_processor_mode 1
		.amdhsa_memory_ordered 1
		.amdhsa_forward_progress 0
		.amdhsa_shared_vgpr_count 0
		.amdhsa_exception_fp_ieee_invalid_op 0
		.amdhsa_exception_fp_denorm_src 0
		.amdhsa_exception_fp_ieee_div_zero 0
		.amdhsa_exception_fp_ieee_overflow 0
		.amdhsa_exception_fp_ieee_underflow 0
		.amdhsa_exception_fp_ieee_inexact 0
		.amdhsa_exception_int_div_zero 0
	.end_amdhsa_kernel
	.section	.text._ZN9rocsparseL26csrgemm_group_reduce_part1ILj256ELj11EliEEvT2_PT1_PS1_j,"axG",@progbits,_ZN9rocsparseL26csrgemm_group_reduce_part1ILj256ELj11EliEEvT2_PT1_PS1_j,comdat
.Lfunc_end30:
	.size	_ZN9rocsparseL26csrgemm_group_reduce_part1ILj256ELj11EliEEvT2_PT1_PS1_j, .Lfunc_end30-_ZN9rocsparseL26csrgemm_group_reduce_part1ILj256ELj11EliEEvT2_PT1_PS1_j
                                        ; -- End function
	.section	.AMDGPU.csdata,"",@progbits
; Kernel info:
; codeLenInByte = 2812
; NumSgprs: 24
; NumVgprs: 25
; ScratchSize: 0
; MemoryBound: 0
; FloatMode: 240
; IeeeMode: 1
; LDSByteSize: 11264 bytes/workgroup (compile time only)
; SGPRBlocks: 2
; VGPRBlocks: 3
; NumSGPRsForWavesPerEU: 24
; NumVGPRsForWavesPerEU: 25
; Occupancy: 16
; WaveLimiterHint : 0
; COMPUTE_PGM_RSRC2:SCRATCH_EN: 0
; COMPUTE_PGM_RSRC2:USER_SGPR: 15
; COMPUTE_PGM_RSRC2:TRAP_HANDLER: 0
; COMPUTE_PGM_RSRC2:TGID_X_EN: 1
; COMPUTE_PGM_RSRC2:TGID_Y_EN: 0
; COMPUTE_PGM_RSRC2:TGID_Z_EN: 0
; COMPUTE_PGM_RSRC2:TIDIG_COMP_CNT: 0
	.section	.text._ZN9rocsparseL22csrgemm_nnz_wf_per_rowILj128ELj4ELj32ELj79EliEEvT4_PKS1_S3_PKT3_S3_S6_S3_S6_S3_PS4_21rocsparse_index_base_S8_S8_bb,"axG",@progbits,_ZN9rocsparseL22csrgemm_nnz_wf_per_rowILj128ELj4ELj32ELj79EliEEvT4_PKS1_S3_PKT3_S3_S6_S3_S6_S3_PS4_21rocsparse_index_base_S8_S8_bb,comdat
	.globl	_ZN9rocsparseL22csrgemm_nnz_wf_per_rowILj128ELj4ELj32ELj79EliEEvT4_PKS1_S3_PKT3_S3_S6_S3_S6_S3_PS4_21rocsparse_index_base_S8_S8_bb ; -- Begin function _ZN9rocsparseL22csrgemm_nnz_wf_per_rowILj128ELj4ELj32ELj79EliEEvT4_PKS1_S3_PKT3_S3_S6_S3_S6_S3_PS4_21rocsparse_index_base_S8_S8_bb
	.p2align	8
	.type	_ZN9rocsparseL22csrgemm_nnz_wf_per_rowILj128ELj4ELj32ELj79EliEEvT4_PKS1_S3_PKT3_S3_S6_S3_S6_S3_PS4_21rocsparse_index_base_S8_S8_bb,@function
_ZN9rocsparseL22csrgemm_nnz_wf_per_rowILj128ELj4ELj32ELj79EliEEvT4_PKS1_S3_PKT3_S3_S6_S3_S6_S3_PS4_21rocsparse_index_base_S8_S8_bb: ; @_ZN9rocsparseL22csrgemm_nnz_wf_per_rowILj128ELj4ELj32ELj79EliEEvT4_PKS1_S3_PKT3_S3_S6_S3_S6_S3_PS4_21rocsparse_index_base_S8_S8_bb
; %bb.0:
	s_clause 0x2
	s_load_b64 s[24:25], s[0:1], 0x48
	s_load_b256 s[16:23], s[0:1], 0x8
	s_load_b256 s[4:11], s[0:1], 0x28
	v_dual_mov_b32 v3, -1 :: v_dual_and_b32 v10, 3, v0
	v_lshrrev_b32_e32 v0, 2, v0
	s_mov_b32 s2, 0
	s_delay_alu instid0(VALU_DEP_2) | instskip(SKIP_1) | instid1(VALU_DEP_2)
	v_lshlrev_b32_e32 v2, 2, v10
	v_or_b32_e32 v1, -4, v10
	v_lshl_or_b32 v2, v0, 7, v2
.LBB31_1:                               ; =>This Inner Loop Header: Depth=1
	s_delay_alu instid0(VALU_DEP_2) | instskip(SKIP_4) | instid1(SALU_CYCLE_1)
	v_add_nc_u32_e32 v1, 4, v1
	ds_store_b32 v2, v3
	v_add_nc_u32_e32 v2, 16, v2
	v_cmp_lt_u32_e32 vcc_lo, 27, v1
	s_or_b32 s2, vcc_lo, s2
	s_and_not1_b32 exec_lo, exec_lo, s2
	s_cbranch_execnz .LBB31_1
; %bb.2:
	s_or_b32 exec_lo, exec_lo, s2
	s_load_b32 s2, s[0:1], 0x0
	s_lshl_b32 s3, s15, 5
	s_waitcnt lgkmcnt(0)
	buffer_gl0_inv
	v_and_or_b32 v4, 0x3fffffe0, s3, v0
	s_delay_alu instid0(VALU_DEP_1)
	v_cmp_gt_i32_e32 vcc_lo, s2, v4
	s_and_saveexec_b32 s2, vcc_lo
	s_cbranch_execz .LBB31_39
; %bb.3:
	s_cmp_eq_u64 s[18:19], 0
	s_cbranch_scc1 .LBB31_5
; %bb.4:
	s_load_b32 s2, s[16:17], 0x0
	s_waitcnt lgkmcnt(0)
	v_add_nc_u32_e32 v1, s2, v4
	s_delay_alu instid0(VALU_DEP_1) | instskip(NEXT) | instid1(VALU_DEP_1)
	v_ashrrev_i32_e32 v2, 31, v1
	v_lshlrev_b64 v[1:2], 2, v[1:2]
	s_delay_alu instid0(VALU_DEP_1) | instskip(NEXT) | instid1(VALU_DEP_2)
	v_add_co_u32 v1, vcc_lo, s18, v1
	v_add_co_ci_u32_e32 v2, vcc_lo, s19, v2, vcc_lo
	global_load_b32 v4, v[1:2], off
.LBB31_5:
	s_load_b128 s[12:15], s[0:1], 0x50
	v_dual_mov_b32 v12, 0 :: v_dual_lshlrev_b32 v11, 7, v0
	s_waitcnt vmcnt(0)
	v_ashrrev_i32_e32 v5, 31, v4
	s_waitcnt lgkmcnt(0)
	s_bitcmp0_b32 s15, 0
	s_cbranch_scc1 .LBB31_23
; %bb.6:
	s_delay_alu instid0(VALU_DEP_1) | instskip(SKIP_1) | instid1(VALU_DEP_1)
	v_lshlrev_b64 v[0:1], 3, v[4:5]
	v_sub_co_u32 v8, s2, v10, s12
	v_sub_co_ci_u32_e64 v9, null, 0, 0, s2
	v_mov_b32_e32 v12, 0
	s_delay_alu instid0(VALU_DEP_4)
	v_add_co_u32 v0, vcc_lo, s20, v0
	v_add_co_ci_u32_e32 v1, vcc_lo, s21, v1, vcc_lo
	s_mov_b32 s3, exec_lo
	global_load_b128 v[0:3], v[0:1], off
	s_waitcnt vmcnt(0)
	v_sub_co_u32 v6, vcc_lo, v2, s12
	v_subrev_co_ci_u32_e32 v7, vcc_lo, 0, v3, vcc_lo
	v_add_co_u32 v8, vcc_lo, v8, v0
	v_add_co_ci_u32_e32 v9, vcc_lo, v9, v1, vcc_lo
	s_delay_alu instid0(VALU_DEP_1)
	v_cmpx_lt_i64_e64 v[8:9], v[6:7]
	s_cbranch_execz .LBB31_22
; %bb.7:
	v_dual_mov_b32 v12, 0 :: v_dual_mov_b32 v13, -1
	s_mov_b32 s15, 0
	s_mov_b32 s16, s13
	s_branch .LBB31_10
.LBB31_8:                               ;   in Loop: Header=BB31_10 Depth=1
	s_or_b32 exec_lo, exec_lo, s18
.LBB31_9:                               ;   in Loop: Header=BB31_10 Depth=1
	s_delay_alu instid0(SALU_CYCLE_1) | instskip(SKIP_2) | instid1(VALU_DEP_1)
	s_or_b32 exec_lo, exec_lo, s17
	v_add_co_u32 v8, vcc_lo, v8, 4
	v_add_co_ci_u32_e32 v9, vcc_lo, 0, v9, vcc_lo
	v_cmp_ge_i64_e32 vcc_lo, v[8:9], v[6:7]
	s_or_b32 s15, vcc_lo, s15
	s_delay_alu instid0(SALU_CYCLE_1)
	s_and_not1_b32 exec_lo, exec_lo, s15
	s_cbranch_execz .LBB31_21
.LBB31_10:                              ; =>This Loop Header: Depth=1
                                        ;     Child Loop BB31_13 Depth 2
                                        ;       Child Loop BB31_16 Depth 3
	v_lshlrev_b64 v[0:1], 2, v[8:9]
	s_mov_b32 s17, exec_lo
	s_delay_alu instid0(VALU_DEP_1) | instskip(NEXT) | instid1(VALU_DEP_2)
	v_add_co_u32 v0, vcc_lo, s22, v0
	v_add_co_ci_u32_e32 v1, vcc_lo, s23, v1, vcc_lo
	global_load_b32 v0, v[0:1], off
	s_waitcnt vmcnt(0)
	v_subrev_nc_u32_e32 v0, s12, v0
	s_delay_alu instid0(VALU_DEP_1) | instskip(NEXT) | instid1(VALU_DEP_1)
	v_ashrrev_i32_e32 v1, 31, v0
	v_lshlrev_b64 v[0:1], 3, v[0:1]
	s_delay_alu instid0(VALU_DEP_1) | instskip(NEXT) | instid1(VALU_DEP_2)
	v_add_co_u32 v0, vcc_lo, s4, v0
	v_add_co_ci_u32_e32 v1, vcc_lo, s5, v1, vcc_lo
	global_load_b128 v[0:3], v[0:1], off
	s_waitcnt vmcnt(0)
	v_cmpx_lt_i64_e64 v[0:1], v[2:3]
	s_cbranch_execz .LBB31_9
; %bb.11:                               ;   in Loop: Header=BB31_10 Depth=1
	v_sub_co_u32 v2, vcc_lo, v2, s16
	v_subrev_co_ci_u32_e32 v3, vcc_lo, 0, v3, vcc_lo
	v_sub_co_u32 v0, vcc_lo, v0, s16
	v_subrev_co_ci_u32_e32 v1, vcc_lo, 0, v1, vcc_lo
	s_mov_b32 s18, 0
	s_branch .LBB31_13
.LBB31_12:                              ;   in Loop: Header=BB31_13 Depth=2
	s_or_b32 exec_lo, exec_lo, s20
	v_add_co_u32 v0, vcc_lo, v0, 1
	v_add_co_ci_u32_e32 v1, vcc_lo, 0, v1, vcc_lo
	v_cndmask_b32_e64 v14, 0, 1, s19
	s_delay_alu instid0(VALU_DEP_2) | instskip(NEXT) | instid1(VALU_DEP_2)
	v_cmp_ge_i64_e32 vcc_lo, v[0:1], v[2:3]
	v_add_nc_u32_e32 v12, v12, v14
	s_or_b32 s18, vcc_lo, s18
	s_delay_alu instid0(SALU_CYCLE_1)
	s_and_not1_b32 exec_lo, exec_lo, s18
	s_cbranch_execz .LBB31_8
.LBB31_13:                              ;   Parent Loop BB31_10 Depth=1
                                        ; =>  This Loop Header: Depth=2
                                        ;       Child Loop BB31_16 Depth 3
	s_delay_alu instid0(VALU_DEP_1) | instskip(SKIP_1) | instid1(VALU_DEP_1)
	v_lshlrev_b64 v[14:15], 2, v[0:1]
	s_mov_b32 s20, 0
                                        ; implicit-def: $sgpr19
                                        ; implicit-def: $sgpr21
                                        ; implicit-def: $sgpr26
                                        ; implicit-def: $sgpr27
	v_add_co_u32 v14, vcc_lo, s6, v14
	s_delay_alu instid0(VALU_DEP_2) | instskip(SKIP_3) | instid1(VALU_DEP_1)
	v_add_co_ci_u32_e32 v15, vcc_lo, s7, v15, vcc_lo
	global_load_b32 v14, v[14:15], off
	s_waitcnt vmcnt(0)
	v_subrev_nc_u32_e32 v14, s13, v14
	v_mul_lo_u32 v15, v14, 15
	s_delay_alu instid0(VALU_DEP_1)
	v_and_b32_e32 v15, 31, v15
	s_branch .LBB31_16
.LBB31_14:                              ;   in Loop: Header=BB31_16 Depth=3
	s_or_b32 exec_lo, exec_lo, s31
	s_delay_alu instid0(SALU_CYCLE_1)
	s_and_not1_b32 s2, s26, exec_lo
	s_and_b32 s26, s29, exec_lo
	s_and_not1_b32 s21, s21, exec_lo
	s_and_b32 s27, s30, exec_lo
	s_or_b32 s26, s2, s26
	s_or_b32 s21, s21, s27
                                        ; implicit-def: $sgpr27
.LBB31_15:                              ;   in Loop: Header=BB31_16 Depth=3
	s_or_b32 exec_lo, exec_lo, s28
	s_xor_b32 s2, s21, -1
	s_delay_alu instid0(SALU_CYCLE_1) | instskip(NEXT) | instid1(SALU_CYCLE_1)
	s_and_b32 s2, exec_lo, s2
	s_or_b32 s20, s2, s20
	s_and_not1_b32 s2, s27, exec_lo
	s_and_b32 s28, s26, exec_lo
	s_and_not1_b32 s19, s19, exec_lo
	s_or_b32 s27, s2, s28
	s_or_b32 s19, s19, s28
	s_and_not1_b32 exec_lo, exec_lo, s20
	s_cbranch_execz .LBB31_12
.LBB31_16:                              ;   Parent Loop BB31_10 Depth=1
                                        ;     Parent Loop BB31_13 Depth=2
                                        ; =>    This Inner Loop Header: Depth=3
	s_delay_alu instid0(VALU_DEP_1)
	v_lshl_add_u32 v16, v15, 2, v11
	s_and_not1_b32 s26, s26, exec_lo
	s_and_not1_b32 s21, s21, exec_lo
	s_mov_b32 s28, exec_lo
	ds_load_b32 v17, v16
	s_waitcnt lgkmcnt(0)
	v_cmpx_ne_u32_e64 v17, v14
	s_cbranch_execz .LBB31_15
; %bb.17:                               ;   in Loop: Header=BB31_16 Depth=3
	s_mov_b32 s2, exec_lo
                                        ; implicit-def: $sgpr29
                                        ; implicit-def: $sgpr30
	v_cmpx_ne_u32_e32 -1, v17
	s_xor_b32 s2, exec_lo, s2
; %bb.18:                               ;   in Loop: Header=BB31_16 Depth=3
	v_add_nc_u32_e32 v15, 1, v15
	s_mov_b32 s30, -1
	s_and_b32 s29, s27, exec_lo
                                        ; implicit-def: $vgpr16
	s_delay_alu instid0(VALU_DEP_1)
	v_and_b32_e32 v15, 31, v15
; %bb.19:                               ;   in Loop: Header=BB31_16 Depth=3
	s_and_not1_saveexec_b32 s31, s2
	s_cbranch_execz .LBB31_14
; %bb.20:                               ;   in Loop: Header=BB31_16 Depth=3
	ds_cmpstore_rtn_b32 v16, v16, v14, v13
	s_and_not1_b32 s30, s30, exec_lo
	s_and_not1_b32 s29, s29, exec_lo
	s_waitcnt lgkmcnt(0)
	v_cmp_eq_u32_e32 vcc_lo, -1, v16
	v_cmp_ne_u32_e64 s2, -1, v16
	s_or_b32 s27, vcc_lo, s27
	s_delay_alu instid0(VALU_DEP_1)
	s_and_b32 s2, s2, exec_lo
	s_and_b32 s27, s27, exec_lo
	s_or_b32 s30, s30, s2
	s_or_b32 s29, s29, s27
	s_branch .LBB31_14
.LBB31_21:
	s_or_b32 exec_lo, exec_lo, s15
.LBB31_22:
	s_delay_alu instid0(SALU_CYCLE_1)
	s_or_b32 exec_lo, exec_lo, s3
.LBB31_23:
	s_load_b32 s0, s[0:1], 0x5c
	s_waitcnt lgkmcnt(0)
	s_bfe_u32 s0, s0, 0x10008
	s_delay_alu instid0(SALU_CYCLE_1)
	s_cmp_eq_u32 s0, 0
	s_cbranch_scc1 .LBB31_37
; %bb.24:
	v_lshlrev_b64 v[0:1], 3, v[4:5]
	v_sub_co_u32 v2, s0, v10, s14
	s_delay_alu instid0(VALU_DEP_1) | instskip(SKIP_1) | instid1(VALU_DEP_3)
	v_sub_co_ci_u32_e64 v3, null, 0, 0, s0
	s_mov_b32 s2, 0
	v_add_co_u32 v0, vcc_lo, s8, v0
	s_delay_alu instid0(VALU_DEP_4)
	v_add_co_ci_u32_e32 v1, vcc_lo, s9, v1, vcc_lo
	s_mov_b32 s1, exec_lo
	global_load_b128 v[6:9], v[0:1], off
	s_waitcnt vmcnt(0)
	v_sub_co_u32 v0, vcc_lo, v8, s14
	v_subrev_co_ci_u32_e32 v1, vcc_lo, 0, v9, vcc_lo
	v_add_co_u32 v2, vcc_lo, v2, v6
	v_add_co_ci_u32_e32 v3, vcc_lo, v3, v7, vcc_lo
	s_delay_alu instid0(VALU_DEP_1)
	v_cmpx_lt_i64_e64 v[2:3], v[0:1]
	s_cbranch_execz .LBB31_36
; %bb.25:
	v_mov_b32_e32 v6, -1
	s_branch .LBB31_27
.LBB31_26:                              ;   in Loop: Header=BB31_27 Depth=1
	s_or_b32 exec_lo, exec_lo, s4
	v_add_co_u32 v2, vcc_lo, v2, 4
	v_add_co_ci_u32_e32 v3, vcc_lo, 0, v3, vcc_lo
	v_cndmask_b32_e64 v7, 0, 1, s3
	s_delay_alu instid0(VALU_DEP_2) | instskip(NEXT) | instid1(VALU_DEP_2)
	v_cmp_ge_i64_e32 vcc_lo, v[2:3], v[0:1]
	v_add_nc_u32_e32 v12, v12, v7
	s_or_b32 s2, vcc_lo, s2
	s_delay_alu instid0(SALU_CYCLE_1)
	s_and_not1_b32 exec_lo, exec_lo, s2
	s_cbranch_execz .LBB31_35
.LBB31_27:                              ; =>This Loop Header: Depth=1
                                        ;     Child Loop BB31_30 Depth 2
	v_lshlrev_b64 v[7:8], 2, v[2:3]
	s_mov_b32 s4, 0
                                        ; implicit-def: $sgpr3
                                        ; implicit-def: $sgpr5
                                        ; implicit-def: $sgpr6
                                        ; implicit-def: $sgpr7
	s_delay_alu instid0(VALU_DEP_1) | instskip(NEXT) | instid1(VALU_DEP_2)
	v_add_co_u32 v7, vcc_lo, s10, v7
	v_add_co_ci_u32_e32 v8, vcc_lo, s11, v8, vcc_lo
	global_load_b32 v7, v[7:8], off
	s_waitcnt vmcnt(0)
	v_subrev_nc_u32_e32 v7, s14, v7
	s_delay_alu instid0(VALU_DEP_1) | instskip(NEXT) | instid1(VALU_DEP_1)
	v_mul_lo_u32 v8, v7, 15
	v_and_b32_e32 v8, 31, v8
	s_branch .LBB31_30
.LBB31_28:                              ;   in Loop: Header=BB31_30 Depth=2
	s_or_b32 exec_lo, exec_lo, s13
	s_delay_alu instid0(SALU_CYCLE_1)
	s_and_not1_b32 s0, s6, exec_lo
	s_and_b32 s6, s9, exec_lo
	s_and_not1_b32 s5, s5, exec_lo
	s_and_b32 s7, s12, exec_lo
	s_or_b32 s6, s0, s6
	s_or_b32 s5, s5, s7
                                        ; implicit-def: $sgpr7
.LBB31_29:                              ;   in Loop: Header=BB31_30 Depth=2
	s_or_b32 exec_lo, exec_lo, s8
	s_xor_b32 s0, s5, -1
	s_delay_alu instid0(SALU_CYCLE_1) | instskip(NEXT) | instid1(SALU_CYCLE_1)
	s_and_b32 s0, exec_lo, s0
	s_or_b32 s4, s0, s4
	s_and_not1_b32 s0, s7, exec_lo
	s_and_b32 s8, s6, exec_lo
	s_and_not1_b32 s3, s3, exec_lo
	s_or_b32 s7, s0, s8
	s_or_b32 s3, s3, s8
	s_and_not1_b32 exec_lo, exec_lo, s4
	s_cbranch_execz .LBB31_26
.LBB31_30:                              ;   Parent Loop BB31_27 Depth=1
                                        ; =>  This Inner Loop Header: Depth=2
	s_delay_alu instid0(VALU_DEP_1)
	v_lshl_add_u32 v9, v8, 2, v11
	s_and_not1_b32 s6, s6, exec_lo
	s_and_not1_b32 s5, s5, exec_lo
	s_mov_b32 s8, exec_lo
	ds_load_b32 v13, v9
	s_waitcnt lgkmcnt(0)
	v_cmpx_ne_u32_e64 v13, v7
	s_cbranch_execz .LBB31_29
; %bb.31:                               ;   in Loop: Header=BB31_30 Depth=2
	s_mov_b32 s0, exec_lo
                                        ; implicit-def: $sgpr9
                                        ; implicit-def: $sgpr12
	v_cmpx_ne_u32_e32 -1, v13
	s_xor_b32 s0, exec_lo, s0
; %bb.32:                               ;   in Loop: Header=BB31_30 Depth=2
	v_add_nc_u32_e32 v8, 1, v8
	s_mov_b32 s12, -1
	s_and_b32 s9, s7, exec_lo
                                        ; implicit-def: $vgpr9
	s_delay_alu instid0(VALU_DEP_1)
	v_and_b32_e32 v8, 31, v8
; %bb.33:                               ;   in Loop: Header=BB31_30 Depth=2
	s_and_not1_saveexec_b32 s13, s0
	s_cbranch_execz .LBB31_28
; %bb.34:                               ;   in Loop: Header=BB31_30 Depth=2
	ds_cmpstore_rtn_b32 v9, v9, v7, v6
	s_and_not1_b32 s12, s12, exec_lo
	s_and_not1_b32 s9, s9, exec_lo
	s_waitcnt lgkmcnt(0)
	v_cmp_eq_u32_e32 vcc_lo, -1, v9
	v_cmp_ne_u32_e64 s0, -1, v9
	s_or_b32 s7, vcc_lo, s7
	s_delay_alu instid0(VALU_DEP_1)
	s_and_b32 s0, s0, exec_lo
	s_and_b32 s7, s7, exec_lo
	s_or_b32 s12, s12, s0
	s_or_b32 s9, s9, s7
	s_branch .LBB31_28
.LBB31_35:
	s_or_b32 exec_lo, exec_lo, s2
.LBB31_36:
	s_delay_alu instid0(SALU_CYCLE_1)
	s_or_b32 exec_lo, exec_lo, s1
.LBB31_37:
	v_mbcnt_lo_u32_b32 v0, -1, 0
	s_delay_alu instid0(VALU_DEP_1) | instskip(SKIP_1) | instid1(VALU_DEP_2)
	v_xor_b32_e32 v1, 2, v0
	v_xor_b32_e32 v2, 1, v0
	v_cmp_gt_i32_e32 vcc_lo, 32, v1
	v_cndmask_b32_e32 v1, v0, v1, vcc_lo
	s_delay_alu instid0(VALU_DEP_3) | instskip(NEXT) | instid1(VALU_DEP_2)
	v_cmp_gt_i32_e32 vcc_lo, 32, v2
	v_dual_cndmask_b32 v2, v0, v2 :: v_dual_lshlrev_b32 v1, 2, v1
	v_cmp_eq_u32_e32 vcc_lo, 3, v10
	ds_bpermute_b32 v1, v1, v12
	s_waitcnt lgkmcnt(0)
	v_add_nc_u32_e32 v0, v1, v12
	v_lshlrev_b32_e32 v1, 2, v2
	ds_bpermute_b32 v1, v1, v0
	s_and_b32 exec_lo, exec_lo, vcc_lo
	s_cbranch_execz .LBB31_39
; %bb.38:
	v_lshlrev_b64 v[2:3], 3, v[4:5]
	s_waitcnt lgkmcnt(0)
	v_add_nc_u32_e32 v0, v1, v0
	s_delay_alu instid0(VALU_DEP_1) | instskip(NEXT) | instid1(VALU_DEP_3)
	v_ashrrev_i32_e32 v1, 31, v0
	v_add_co_u32 v2, vcc_lo, s24, v2
	s_delay_alu instid0(VALU_DEP_4)
	v_add_co_ci_u32_e32 v3, vcc_lo, s25, v3, vcc_lo
	global_store_b64 v[2:3], v[0:1], off
.LBB31_39:
	s_nop 0
	s_sendmsg sendmsg(MSG_DEALLOC_VGPRS)
	s_endpgm
	.section	.rodata,"a",@progbits
	.p2align	6, 0x0
	.amdhsa_kernel _ZN9rocsparseL22csrgemm_nnz_wf_per_rowILj128ELj4ELj32ELj79EliEEvT4_PKS1_S3_PKT3_S3_S6_S3_S6_S3_PS4_21rocsparse_index_base_S8_S8_bb
		.amdhsa_group_segment_fixed_size 4096
		.amdhsa_private_segment_fixed_size 0
		.amdhsa_kernarg_size 96
		.amdhsa_user_sgpr_count 15
		.amdhsa_user_sgpr_dispatch_ptr 0
		.amdhsa_user_sgpr_queue_ptr 0
		.amdhsa_user_sgpr_kernarg_segment_ptr 1
		.amdhsa_user_sgpr_dispatch_id 0
		.amdhsa_user_sgpr_private_segment_size 0
		.amdhsa_wavefront_size32 1
		.amdhsa_uses_dynamic_stack 0
		.amdhsa_enable_private_segment 0
		.amdhsa_system_sgpr_workgroup_id_x 1
		.amdhsa_system_sgpr_workgroup_id_y 0
		.amdhsa_system_sgpr_workgroup_id_z 0
		.amdhsa_system_sgpr_workgroup_info 0
		.amdhsa_system_vgpr_workitem_id 0
		.amdhsa_next_free_vgpr 18
		.amdhsa_next_free_sgpr 32
		.amdhsa_reserve_vcc 1
		.amdhsa_float_round_mode_32 0
		.amdhsa_float_round_mode_16_64 0
		.amdhsa_float_denorm_mode_32 3
		.amdhsa_float_denorm_mode_16_64 3
		.amdhsa_dx10_clamp 1
		.amdhsa_ieee_mode 1
		.amdhsa_fp16_overflow 0
		.amdhsa_workgroup_processor_mode 1
		.amdhsa_memory_ordered 1
		.amdhsa_forward_progress 0
		.amdhsa_shared_vgpr_count 0
		.amdhsa_exception_fp_ieee_invalid_op 0
		.amdhsa_exception_fp_denorm_src 0
		.amdhsa_exception_fp_ieee_div_zero 0
		.amdhsa_exception_fp_ieee_overflow 0
		.amdhsa_exception_fp_ieee_underflow 0
		.amdhsa_exception_fp_ieee_inexact 0
		.amdhsa_exception_int_div_zero 0
	.end_amdhsa_kernel
	.section	.text._ZN9rocsparseL22csrgemm_nnz_wf_per_rowILj128ELj4ELj32ELj79EliEEvT4_PKS1_S3_PKT3_S3_S6_S3_S6_S3_PS4_21rocsparse_index_base_S8_S8_bb,"axG",@progbits,_ZN9rocsparseL22csrgemm_nnz_wf_per_rowILj128ELj4ELj32ELj79EliEEvT4_PKS1_S3_PKT3_S3_S6_S3_S6_S3_PS4_21rocsparse_index_base_S8_S8_bb,comdat
.Lfunc_end31:
	.size	_ZN9rocsparseL22csrgemm_nnz_wf_per_rowILj128ELj4ELj32ELj79EliEEvT4_PKS1_S3_PKT3_S3_S6_S3_S6_S3_PS4_21rocsparse_index_base_S8_S8_bb, .Lfunc_end31-_ZN9rocsparseL22csrgemm_nnz_wf_per_rowILj128ELj4ELj32ELj79EliEEvT4_PKS1_S3_PKT3_S3_S6_S3_S6_S3_PS4_21rocsparse_index_base_S8_S8_bb
                                        ; -- End function
	.section	.AMDGPU.csdata,"",@progbits
; Kernel info:
; codeLenInByte = 1560
; NumSgprs: 34
; NumVgprs: 18
; ScratchSize: 0
; MemoryBound: 0
; FloatMode: 240
; IeeeMode: 1
; LDSByteSize: 4096 bytes/workgroup (compile time only)
; SGPRBlocks: 4
; VGPRBlocks: 2
; NumSGPRsForWavesPerEU: 34
; NumVGPRsForWavesPerEU: 18
; Occupancy: 16
; WaveLimiterHint : 1
; COMPUTE_PGM_RSRC2:SCRATCH_EN: 0
; COMPUTE_PGM_RSRC2:USER_SGPR: 15
; COMPUTE_PGM_RSRC2:TRAP_HANDLER: 0
; COMPUTE_PGM_RSRC2:TGID_X_EN: 1
; COMPUTE_PGM_RSRC2:TGID_Y_EN: 0
; COMPUTE_PGM_RSRC2:TGID_Z_EN: 0
; COMPUTE_PGM_RSRC2:TIDIG_COMP_CNT: 0
	.section	.text._ZN9rocsparseL22csrgemm_nnz_wf_per_rowILj256ELj8ELj64ELj79EliEEvT4_PKS1_S3_PKT3_S3_S6_S3_S6_S3_PS4_21rocsparse_index_base_S8_S8_bb,"axG",@progbits,_ZN9rocsparseL22csrgemm_nnz_wf_per_rowILj256ELj8ELj64ELj79EliEEvT4_PKS1_S3_PKT3_S3_S6_S3_S6_S3_PS4_21rocsparse_index_base_S8_S8_bb,comdat
	.globl	_ZN9rocsparseL22csrgemm_nnz_wf_per_rowILj256ELj8ELj64ELj79EliEEvT4_PKS1_S3_PKT3_S3_S6_S3_S6_S3_PS4_21rocsparse_index_base_S8_S8_bb ; -- Begin function _ZN9rocsparseL22csrgemm_nnz_wf_per_rowILj256ELj8ELj64ELj79EliEEvT4_PKS1_S3_PKT3_S3_S6_S3_S6_S3_PS4_21rocsparse_index_base_S8_S8_bb
	.p2align	8
	.type	_ZN9rocsparseL22csrgemm_nnz_wf_per_rowILj256ELj8ELj64ELj79EliEEvT4_PKS1_S3_PKT3_S3_S6_S3_S6_S3_PS4_21rocsparse_index_base_S8_S8_bb,@function
_ZN9rocsparseL22csrgemm_nnz_wf_per_rowILj256ELj8ELj64ELj79EliEEvT4_PKS1_S3_PKT3_S3_S6_S3_S6_S3_PS4_21rocsparse_index_base_S8_S8_bb: ; @_ZN9rocsparseL22csrgemm_nnz_wf_per_rowILj256ELj8ELj64ELj79EliEEvT4_PKS1_S3_PKT3_S3_S6_S3_S6_S3_PS4_21rocsparse_index_base_S8_S8_bb
; %bb.0:
	s_clause 0x2
	s_load_b64 s[24:25], s[0:1], 0x48
	s_load_b256 s[16:23], s[0:1], 0x8
	s_load_b256 s[4:11], s[0:1], 0x28
	v_dual_mov_b32 v3, -1 :: v_dual_and_b32 v10, 7, v0
	v_lshrrev_b32_e32 v0, 3, v0
	s_mov_b32 s2, 0
	s_delay_alu instid0(VALU_DEP_2) | instskip(SKIP_1) | instid1(VALU_DEP_2)
	v_lshlrev_b32_e32 v2, 2, v10
	v_or_b32_e32 v1, -8, v10
	v_lshl_or_b32 v2, v0, 8, v2
.LBB32_1:                               ; =>This Inner Loop Header: Depth=1
	s_delay_alu instid0(VALU_DEP_2) | instskip(SKIP_4) | instid1(SALU_CYCLE_1)
	v_add_nc_u32_e32 v1, 8, v1
	ds_store_b32 v2, v3
	v_add_nc_u32_e32 v2, 32, v2
	v_cmp_lt_u32_e32 vcc_lo, 55, v1
	s_or_b32 s2, vcc_lo, s2
	s_and_not1_b32 exec_lo, exec_lo, s2
	s_cbranch_execnz .LBB32_1
; %bb.2:
	s_or_b32 exec_lo, exec_lo, s2
	s_load_b32 s2, s[0:1], 0x0
	s_lshl_b32 s3, s15, 5
	s_waitcnt lgkmcnt(0)
	buffer_gl0_inv
	v_and_or_b32 v4, 0x1fffffe0, s3, v0
	s_delay_alu instid0(VALU_DEP_1)
	v_cmp_gt_i32_e32 vcc_lo, s2, v4
	s_and_saveexec_b32 s2, vcc_lo
	s_cbranch_execz .LBB32_39
; %bb.3:
	s_cmp_eq_u64 s[18:19], 0
	s_cbranch_scc1 .LBB32_5
; %bb.4:
	s_load_b32 s2, s[16:17], 0x0
	s_waitcnt lgkmcnt(0)
	v_add_nc_u32_e32 v1, s2, v4
	s_delay_alu instid0(VALU_DEP_1) | instskip(NEXT) | instid1(VALU_DEP_1)
	v_ashrrev_i32_e32 v2, 31, v1
	v_lshlrev_b64 v[1:2], 2, v[1:2]
	s_delay_alu instid0(VALU_DEP_1) | instskip(NEXT) | instid1(VALU_DEP_2)
	v_add_co_u32 v1, vcc_lo, s18, v1
	v_add_co_ci_u32_e32 v2, vcc_lo, s19, v2, vcc_lo
	global_load_b32 v4, v[1:2], off
.LBB32_5:
	s_load_b128 s[12:15], s[0:1], 0x50
	v_dual_mov_b32 v12, 0 :: v_dual_lshlrev_b32 v11, 8, v0
	s_waitcnt vmcnt(0)
	v_ashrrev_i32_e32 v5, 31, v4
	s_waitcnt lgkmcnt(0)
	s_bitcmp0_b32 s15, 0
	s_cbranch_scc1 .LBB32_23
; %bb.6:
	s_delay_alu instid0(VALU_DEP_1) | instskip(SKIP_1) | instid1(VALU_DEP_1)
	v_lshlrev_b64 v[0:1], 3, v[4:5]
	v_sub_co_u32 v8, s2, v10, s12
	v_sub_co_ci_u32_e64 v9, null, 0, 0, s2
	v_mov_b32_e32 v12, 0
	s_delay_alu instid0(VALU_DEP_4)
	v_add_co_u32 v0, vcc_lo, s20, v0
	v_add_co_ci_u32_e32 v1, vcc_lo, s21, v1, vcc_lo
	s_mov_b32 s3, exec_lo
	global_load_b128 v[0:3], v[0:1], off
	s_waitcnt vmcnt(0)
	v_sub_co_u32 v6, vcc_lo, v2, s12
	v_subrev_co_ci_u32_e32 v7, vcc_lo, 0, v3, vcc_lo
	v_add_co_u32 v8, vcc_lo, v8, v0
	v_add_co_ci_u32_e32 v9, vcc_lo, v9, v1, vcc_lo
	s_delay_alu instid0(VALU_DEP_1)
	v_cmpx_lt_i64_e64 v[8:9], v[6:7]
	s_cbranch_execz .LBB32_22
; %bb.7:
	v_dual_mov_b32 v12, 0 :: v_dual_mov_b32 v13, -1
	s_mov_b32 s15, 0
	s_mov_b32 s16, s13
	s_branch .LBB32_10
.LBB32_8:                               ;   in Loop: Header=BB32_10 Depth=1
	s_or_b32 exec_lo, exec_lo, s18
.LBB32_9:                               ;   in Loop: Header=BB32_10 Depth=1
	s_delay_alu instid0(SALU_CYCLE_1) | instskip(SKIP_2) | instid1(VALU_DEP_1)
	s_or_b32 exec_lo, exec_lo, s17
	v_add_co_u32 v8, vcc_lo, v8, 8
	v_add_co_ci_u32_e32 v9, vcc_lo, 0, v9, vcc_lo
	v_cmp_ge_i64_e32 vcc_lo, v[8:9], v[6:7]
	s_or_b32 s15, vcc_lo, s15
	s_delay_alu instid0(SALU_CYCLE_1)
	s_and_not1_b32 exec_lo, exec_lo, s15
	s_cbranch_execz .LBB32_21
.LBB32_10:                              ; =>This Loop Header: Depth=1
                                        ;     Child Loop BB32_13 Depth 2
                                        ;       Child Loop BB32_16 Depth 3
	v_lshlrev_b64 v[0:1], 2, v[8:9]
	s_mov_b32 s17, exec_lo
	s_delay_alu instid0(VALU_DEP_1) | instskip(NEXT) | instid1(VALU_DEP_2)
	v_add_co_u32 v0, vcc_lo, s22, v0
	v_add_co_ci_u32_e32 v1, vcc_lo, s23, v1, vcc_lo
	global_load_b32 v0, v[0:1], off
	s_waitcnt vmcnt(0)
	v_subrev_nc_u32_e32 v0, s12, v0
	s_delay_alu instid0(VALU_DEP_1) | instskip(NEXT) | instid1(VALU_DEP_1)
	v_ashrrev_i32_e32 v1, 31, v0
	v_lshlrev_b64 v[0:1], 3, v[0:1]
	s_delay_alu instid0(VALU_DEP_1) | instskip(NEXT) | instid1(VALU_DEP_2)
	v_add_co_u32 v0, vcc_lo, s4, v0
	v_add_co_ci_u32_e32 v1, vcc_lo, s5, v1, vcc_lo
	global_load_b128 v[0:3], v[0:1], off
	s_waitcnt vmcnt(0)
	v_cmpx_lt_i64_e64 v[0:1], v[2:3]
	s_cbranch_execz .LBB32_9
; %bb.11:                               ;   in Loop: Header=BB32_10 Depth=1
	v_sub_co_u32 v2, vcc_lo, v2, s16
	v_subrev_co_ci_u32_e32 v3, vcc_lo, 0, v3, vcc_lo
	v_sub_co_u32 v0, vcc_lo, v0, s16
	v_subrev_co_ci_u32_e32 v1, vcc_lo, 0, v1, vcc_lo
	s_mov_b32 s18, 0
	s_branch .LBB32_13
.LBB32_12:                              ;   in Loop: Header=BB32_13 Depth=2
	s_or_b32 exec_lo, exec_lo, s20
	v_add_co_u32 v0, vcc_lo, v0, 1
	v_add_co_ci_u32_e32 v1, vcc_lo, 0, v1, vcc_lo
	v_cndmask_b32_e64 v14, 0, 1, s19
	s_delay_alu instid0(VALU_DEP_2) | instskip(NEXT) | instid1(VALU_DEP_2)
	v_cmp_ge_i64_e32 vcc_lo, v[0:1], v[2:3]
	v_add_nc_u32_e32 v12, v12, v14
	s_or_b32 s18, vcc_lo, s18
	s_delay_alu instid0(SALU_CYCLE_1)
	s_and_not1_b32 exec_lo, exec_lo, s18
	s_cbranch_execz .LBB32_8
.LBB32_13:                              ;   Parent Loop BB32_10 Depth=1
                                        ; =>  This Loop Header: Depth=2
                                        ;       Child Loop BB32_16 Depth 3
	s_delay_alu instid0(VALU_DEP_1) | instskip(SKIP_1) | instid1(VALU_DEP_1)
	v_lshlrev_b64 v[14:15], 2, v[0:1]
	s_mov_b32 s20, 0
                                        ; implicit-def: $sgpr19
                                        ; implicit-def: $sgpr21
                                        ; implicit-def: $sgpr26
                                        ; implicit-def: $sgpr27
	v_add_co_u32 v14, vcc_lo, s6, v14
	s_delay_alu instid0(VALU_DEP_2) | instskip(SKIP_3) | instid1(VALU_DEP_1)
	v_add_co_ci_u32_e32 v15, vcc_lo, s7, v15, vcc_lo
	global_load_b32 v14, v[14:15], off
	s_waitcnt vmcnt(0)
	v_subrev_nc_u32_e32 v14, s13, v14
	v_mul_lo_u32 v15, v14, 15
	s_delay_alu instid0(VALU_DEP_1)
	v_and_b32_e32 v15, 63, v15
	s_branch .LBB32_16
.LBB32_14:                              ;   in Loop: Header=BB32_16 Depth=3
	s_or_b32 exec_lo, exec_lo, s31
	s_delay_alu instid0(SALU_CYCLE_1)
	s_and_not1_b32 s2, s26, exec_lo
	s_and_b32 s26, s29, exec_lo
	s_and_not1_b32 s21, s21, exec_lo
	s_and_b32 s27, s30, exec_lo
	s_or_b32 s26, s2, s26
	s_or_b32 s21, s21, s27
                                        ; implicit-def: $sgpr27
.LBB32_15:                              ;   in Loop: Header=BB32_16 Depth=3
	s_or_b32 exec_lo, exec_lo, s28
	s_xor_b32 s2, s21, -1
	s_delay_alu instid0(SALU_CYCLE_1) | instskip(NEXT) | instid1(SALU_CYCLE_1)
	s_and_b32 s2, exec_lo, s2
	s_or_b32 s20, s2, s20
	s_and_not1_b32 s2, s27, exec_lo
	s_and_b32 s28, s26, exec_lo
	s_and_not1_b32 s19, s19, exec_lo
	s_or_b32 s27, s2, s28
	s_or_b32 s19, s19, s28
	s_and_not1_b32 exec_lo, exec_lo, s20
	s_cbranch_execz .LBB32_12
.LBB32_16:                              ;   Parent Loop BB32_10 Depth=1
                                        ;     Parent Loop BB32_13 Depth=2
                                        ; =>    This Inner Loop Header: Depth=3
	s_delay_alu instid0(VALU_DEP_1)
	v_lshl_add_u32 v16, v15, 2, v11
	s_and_not1_b32 s26, s26, exec_lo
	s_and_not1_b32 s21, s21, exec_lo
	s_mov_b32 s28, exec_lo
	ds_load_b32 v17, v16
	s_waitcnt lgkmcnt(0)
	v_cmpx_ne_u32_e64 v17, v14
	s_cbranch_execz .LBB32_15
; %bb.17:                               ;   in Loop: Header=BB32_16 Depth=3
	s_mov_b32 s2, exec_lo
                                        ; implicit-def: $sgpr29
                                        ; implicit-def: $sgpr30
	v_cmpx_ne_u32_e32 -1, v17
	s_xor_b32 s2, exec_lo, s2
; %bb.18:                               ;   in Loop: Header=BB32_16 Depth=3
	v_add_nc_u32_e32 v15, 1, v15
	s_mov_b32 s30, -1
	s_and_b32 s29, s27, exec_lo
                                        ; implicit-def: $vgpr16
	s_delay_alu instid0(VALU_DEP_1)
	v_and_b32_e32 v15, 63, v15
; %bb.19:                               ;   in Loop: Header=BB32_16 Depth=3
	s_and_not1_saveexec_b32 s31, s2
	s_cbranch_execz .LBB32_14
; %bb.20:                               ;   in Loop: Header=BB32_16 Depth=3
	ds_cmpstore_rtn_b32 v16, v16, v14, v13
	s_and_not1_b32 s30, s30, exec_lo
	s_and_not1_b32 s29, s29, exec_lo
	s_waitcnt lgkmcnt(0)
	v_cmp_eq_u32_e32 vcc_lo, -1, v16
	v_cmp_ne_u32_e64 s2, -1, v16
	s_or_b32 s27, vcc_lo, s27
	s_delay_alu instid0(VALU_DEP_1)
	s_and_b32 s2, s2, exec_lo
	s_and_b32 s27, s27, exec_lo
	s_or_b32 s30, s30, s2
	s_or_b32 s29, s29, s27
	s_branch .LBB32_14
.LBB32_21:
	s_or_b32 exec_lo, exec_lo, s15
.LBB32_22:
	s_delay_alu instid0(SALU_CYCLE_1)
	s_or_b32 exec_lo, exec_lo, s3
.LBB32_23:
	s_load_b32 s0, s[0:1], 0x5c
	s_waitcnt lgkmcnt(0)
	s_bfe_u32 s0, s0, 0x10008
	s_delay_alu instid0(SALU_CYCLE_1)
	s_cmp_eq_u32 s0, 0
	s_cbranch_scc1 .LBB32_37
; %bb.24:
	v_lshlrev_b64 v[0:1], 3, v[4:5]
	v_sub_co_u32 v2, s0, v10, s14
	s_delay_alu instid0(VALU_DEP_1) | instskip(SKIP_1) | instid1(VALU_DEP_3)
	v_sub_co_ci_u32_e64 v3, null, 0, 0, s0
	s_mov_b32 s2, 0
	v_add_co_u32 v0, vcc_lo, s8, v0
	s_delay_alu instid0(VALU_DEP_4)
	v_add_co_ci_u32_e32 v1, vcc_lo, s9, v1, vcc_lo
	s_mov_b32 s1, exec_lo
	global_load_b128 v[6:9], v[0:1], off
	s_waitcnt vmcnt(0)
	v_sub_co_u32 v0, vcc_lo, v8, s14
	v_subrev_co_ci_u32_e32 v1, vcc_lo, 0, v9, vcc_lo
	v_add_co_u32 v2, vcc_lo, v2, v6
	v_add_co_ci_u32_e32 v3, vcc_lo, v3, v7, vcc_lo
	s_delay_alu instid0(VALU_DEP_1)
	v_cmpx_lt_i64_e64 v[2:3], v[0:1]
	s_cbranch_execz .LBB32_36
; %bb.25:
	v_mov_b32_e32 v6, -1
	s_branch .LBB32_27
.LBB32_26:                              ;   in Loop: Header=BB32_27 Depth=1
	s_or_b32 exec_lo, exec_lo, s4
	v_add_co_u32 v2, vcc_lo, v2, 8
	v_add_co_ci_u32_e32 v3, vcc_lo, 0, v3, vcc_lo
	v_cndmask_b32_e64 v7, 0, 1, s3
	s_delay_alu instid0(VALU_DEP_2) | instskip(NEXT) | instid1(VALU_DEP_2)
	v_cmp_ge_i64_e32 vcc_lo, v[2:3], v[0:1]
	v_add_nc_u32_e32 v12, v12, v7
	s_or_b32 s2, vcc_lo, s2
	s_delay_alu instid0(SALU_CYCLE_1)
	s_and_not1_b32 exec_lo, exec_lo, s2
	s_cbranch_execz .LBB32_35
.LBB32_27:                              ; =>This Loop Header: Depth=1
                                        ;     Child Loop BB32_30 Depth 2
	v_lshlrev_b64 v[7:8], 2, v[2:3]
	s_mov_b32 s4, 0
                                        ; implicit-def: $sgpr3
                                        ; implicit-def: $sgpr5
                                        ; implicit-def: $sgpr6
                                        ; implicit-def: $sgpr7
	s_delay_alu instid0(VALU_DEP_1) | instskip(NEXT) | instid1(VALU_DEP_2)
	v_add_co_u32 v7, vcc_lo, s10, v7
	v_add_co_ci_u32_e32 v8, vcc_lo, s11, v8, vcc_lo
	global_load_b32 v7, v[7:8], off
	s_waitcnt vmcnt(0)
	v_subrev_nc_u32_e32 v7, s14, v7
	s_delay_alu instid0(VALU_DEP_1) | instskip(NEXT) | instid1(VALU_DEP_1)
	v_mul_lo_u32 v8, v7, 15
	v_and_b32_e32 v8, 63, v8
	s_branch .LBB32_30
.LBB32_28:                              ;   in Loop: Header=BB32_30 Depth=2
	s_or_b32 exec_lo, exec_lo, s13
	s_delay_alu instid0(SALU_CYCLE_1)
	s_and_not1_b32 s0, s6, exec_lo
	s_and_b32 s6, s9, exec_lo
	s_and_not1_b32 s5, s5, exec_lo
	s_and_b32 s7, s12, exec_lo
	s_or_b32 s6, s0, s6
	s_or_b32 s5, s5, s7
                                        ; implicit-def: $sgpr7
.LBB32_29:                              ;   in Loop: Header=BB32_30 Depth=2
	s_or_b32 exec_lo, exec_lo, s8
	s_xor_b32 s0, s5, -1
	s_delay_alu instid0(SALU_CYCLE_1) | instskip(NEXT) | instid1(SALU_CYCLE_1)
	s_and_b32 s0, exec_lo, s0
	s_or_b32 s4, s0, s4
	s_and_not1_b32 s0, s7, exec_lo
	s_and_b32 s8, s6, exec_lo
	s_and_not1_b32 s3, s3, exec_lo
	s_or_b32 s7, s0, s8
	s_or_b32 s3, s3, s8
	s_and_not1_b32 exec_lo, exec_lo, s4
	s_cbranch_execz .LBB32_26
.LBB32_30:                              ;   Parent Loop BB32_27 Depth=1
                                        ; =>  This Inner Loop Header: Depth=2
	s_delay_alu instid0(VALU_DEP_1)
	v_lshl_add_u32 v9, v8, 2, v11
	s_and_not1_b32 s6, s6, exec_lo
	s_and_not1_b32 s5, s5, exec_lo
	s_mov_b32 s8, exec_lo
	ds_load_b32 v13, v9
	s_waitcnt lgkmcnt(0)
	v_cmpx_ne_u32_e64 v13, v7
	s_cbranch_execz .LBB32_29
; %bb.31:                               ;   in Loop: Header=BB32_30 Depth=2
	s_mov_b32 s0, exec_lo
                                        ; implicit-def: $sgpr9
                                        ; implicit-def: $sgpr12
	v_cmpx_ne_u32_e32 -1, v13
	s_xor_b32 s0, exec_lo, s0
; %bb.32:                               ;   in Loop: Header=BB32_30 Depth=2
	v_add_nc_u32_e32 v8, 1, v8
	s_mov_b32 s12, -1
	s_and_b32 s9, s7, exec_lo
                                        ; implicit-def: $vgpr9
	s_delay_alu instid0(VALU_DEP_1)
	v_and_b32_e32 v8, 63, v8
; %bb.33:                               ;   in Loop: Header=BB32_30 Depth=2
	s_and_not1_saveexec_b32 s13, s0
	s_cbranch_execz .LBB32_28
; %bb.34:                               ;   in Loop: Header=BB32_30 Depth=2
	ds_cmpstore_rtn_b32 v9, v9, v7, v6
	s_and_not1_b32 s12, s12, exec_lo
	s_and_not1_b32 s9, s9, exec_lo
	s_waitcnt lgkmcnt(0)
	v_cmp_eq_u32_e32 vcc_lo, -1, v9
	v_cmp_ne_u32_e64 s0, -1, v9
	s_or_b32 s7, vcc_lo, s7
	s_delay_alu instid0(VALU_DEP_1)
	s_and_b32 s0, s0, exec_lo
	s_and_b32 s7, s7, exec_lo
	s_or_b32 s12, s12, s0
	s_or_b32 s9, s9, s7
	s_branch .LBB32_28
.LBB32_35:
	s_or_b32 exec_lo, exec_lo, s2
.LBB32_36:
	s_delay_alu instid0(SALU_CYCLE_1)
	s_or_b32 exec_lo, exec_lo, s1
.LBB32_37:
	v_mbcnt_lo_u32_b32 v0, -1, 0
	s_delay_alu instid0(VALU_DEP_1) | instskip(SKIP_2) | instid1(VALU_DEP_3)
	v_xor_b32_e32 v1, 4, v0
	v_xor_b32_e32 v2, 2, v0
	;; [unrolled: 1-line block ×3, first 2 shown]
	v_cmp_gt_i32_e32 vcc_lo, 32, v1
	v_cndmask_b32_e32 v1, v0, v1, vcc_lo
	s_delay_alu instid0(VALU_DEP_4) | instskip(SKIP_2) | instid1(VALU_DEP_2)
	v_cmp_gt_i32_e32 vcc_lo, 32, v2
	v_cndmask_b32_e32 v2, v0, v2, vcc_lo
	v_cmp_gt_i32_e32 vcc_lo, 32, v3
	v_lshlrev_b32_e32 v2, 2, v2
	v_lshlrev_b32_e32 v1, 2, v1
	ds_bpermute_b32 v1, v1, v12
	s_waitcnt lgkmcnt(0)
	v_add_nc_u32_e32 v1, v1, v12
	ds_bpermute_b32 v2, v2, v1
	v_cndmask_b32_e32 v3, v0, v3, vcc_lo
	v_cmp_eq_u32_e32 vcc_lo, 7, v10
	s_waitcnt lgkmcnt(0)
	v_add_nc_u32_e32 v0, v2, v1
	s_delay_alu instid0(VALU_DEP_3)
	v_lshlrev_b32_e32 v1, 2, v3
	ds_bpermute_b32 v1, v1, v0
	s_and_b32 exec_lo, exec_lo, vcc_lo
	s_cbranch_execz .LBB32_39
; %bb.38:
	v_lshlrev_b64 v[2:3], 3, v[4:5]
	s_waitcnt lgkmcnt(0)
	v_add_nc_u32_e32 v0, v1, v0
	s_delay_alu instid0(VALU_DEP_1) | instskip(NEXT) | instid1(VALU_DEP_3)
	v_ashrrev_i32_e32 v1, 31, v0
	v_add_co_u32 v2, vcc_lo, s24, v2
	s_delay_alu instid0(VALU_DEP_4)
	v_add_co_ci_u32_e32 v3, vcc_lo, s25, v3, vcc_lo
	global_store_b64 v[2:3], v[0:1], off
.LBB32_39:
	s_nop 0
	s_sendmsg sendmsg(MSG_DEALLOC_VGPRS)
	s_endpgm
	.section	.rodata,"a",@progbits
	.p2align	6, 0x0
	.amdhsa_kernel _ZN9rocsparseL22csrgemm_nnz_wf_per_rowILj256ELj8ELj64ELj79EliEEvT4_PKS1_S3_PKT3_S3_S6_S3_S6_S3_PS4_21rocsparse_index_base_S8_S8_bb
		.amdhsa_group_segment_fixed_size 8192
		.amdhsa_private_segment_fixed_size 0
		.amdhsa_kernarg_size 96
		.amdhsa_user_sgpr_count 15
		.amdhsa_user_sgpr_dispatch_ptr 0
		.amdhsa_user_sgpr_queue_ptr 0
		.amdhsa_user_sgpr_kernarg_segment_ptr 1
		.amdhsa_user_sgpr_dispatch_id 0
		.amdhsa_user_sgpr_private_segment_size 0
		.amdhsa_wavefront_size32 1
		.amdhsa_uses_dynamic_stack 0
		.amdhsa_enable_private_segment 0
		.amdhsa_system_sgpr_workgroup_id_x 1
		.amdhsa_system_sgpr_workgroup_id_y 0
		.amdhsa_system_sgpr_workgroup_id_z 0
		.amdhsa_system_sgpr_workgroup_info 0
		.amdhsa_system_vgpr_workitem_id 0
		.amdhsa_next_free_vgpr 18
		.amdhsa_next_free_sgpr 32
		.amdhsa_reserve_vcc 1
		.amdhsa_float_round_mode_32 0
		.amdhsa_float_round_mode_16_64 0
		.amdhsa_float_denorm_mode_32 3
		.amdhsa_float_denorm_mode_16_64 3
		.amdhsa_dx10_clamp 1
		.amdhsa_ieee_mode 1
		.amdhsa_fp16_overflow 0
		.amdhsa_workgroup_processor_mode 1
		.amdhsa_memory_ordered 1
		.amdhsa_forward_progress 0
		.amdhsa_shared_vgpr_count 0
		.amdhsa_exception_fp_ieee_invalid_op 0
		.amdhsa_exception_fp_denorm_src 0
		.amdhsa_exception_fp_ieee_div_zero 0
		.amdhsa_exception_fp_ieee_overflow 0
		.amdhsa_exception_fp_ieee_underflow 0
		.amdhsa_exception_fp_ieee_inexact 0
		.amdhsa_exception_int_div_zero 0
	.end_amdhsa_kernel
	.section	.text._ZN9rocsparseL22csrgemm_nnz_wf_per_rowILj256ELj8ELj64ELj79EliEEvT4_PKS1_S3_PKT3_S3_S6_S3_S6_S3_PS4_21rocsparse_index_base_S8_S8_bb,"axG",@progbits,_ZN9rocsparseL22csrgemm_nnz_wf_per_rowILj256ELj8ELj64ELj79EliEEvT4_PKS1_S3_PKT3_S3_S6_S3_S6_S3_PS4_21rocsparse_index_base_S8_S8_bb,comdat
.Lfunc_end32:
	.size	_ZN9rocsparseL22csrgemm_nnz_wf_per_rowILj256ELj8ELj64ELj79EliEEvT4_PKS1_S3_PKT3_S3_S6_S3_S6_S3_PS4_21rocsparse_index_base_S8_S8_bb, .Lfunc_end32-_ZN9rocsparseL22csrgemm_nnz_wf_per_rowILj256ELj8ELj64ELj79EliEEvT4_PKS1_S3_PKT3_S3_S6_S3_S6_S3_PS4_21rocsparse_index_base_S8_S8_bb
                                        ; -- End function
	.section	.AMDGPU.csdata,"",@progbits
; Kernel info:
; codeLenInByte = 1596
; NumSgprs: 34
; NumVgprs: 18
; ScratchSize: 0
; MemoryBound: 0
; FloatMode: 240
; IeeeMode: 1
; LDSByteSize: 8192 bytes/workgroup (compile time only)
; SGPRBlocks: 4
; VGPRBlocks: 2
; NumSGPRsForWavesPerEU: 34
; NumVGPRsForWavesPerEU: 18
; Occupancy: 16
; WaveLimiterHint : 1
; COMPUTE_PGM_RSRC2:SCRATCH_EN: 0
; COMPUTE_PGM_RSRC2:USER_SGPR: 15
; COMPUTE_PGM_RSRC2:TRAP_HANDLER: 0
; COMPUTE_PGM_RSRC2:TGID_X_EN: 1
; COMPUTE_PGM_RSRC2:TGID_Y_EN: 0
; COMPUTE_PGM_RSRC2:TGID_Z_EN: 0
; COMPUTE_PGM_RSRC2:TIDIG_COMP_CNT: 0
	.section	.text._ZN9rocsparseL25csrgemm_nnz_block_per_rowILj128ELj8ELj512ELj79EliEEvPKT4_S3_PKT3_S3_S6_S3_S6_S3_PS4_21rocsparse_index_base_S8_S8_bb,"axG",@progbits,_ZN9rocsparseL25csrgemm_nnz_block_per_rowILj128ELj8ELj512ELj79EliEEvPKT4_S3_PKT3_S3_S6_S3_S6_S3_PS4_21rocsparse_index_base_S8_S8_bb,comdat
	.globl	_ZN9rocsparseL25csrgemm_nnz_block_per_rowILj128ELj8ELj512ELj79EliEEvPKT4_S3_PKT3_S3_S6_S3_S6_S3_PS4_21rocsparse_index_base_S8_S8_bb ; -- Begin function _ZN9rocsparseL25csrgemm_nnz_block_per_rowILj128ELj8ELj512ELj79EliEEvPKT4_S3_PKT3_S3_S6_S3_S6_S3_PS4_21rocsparse_index_base_S8_S8_bb
	.p2align	8
	.type	_ZN9rocsparseL25csrgemm_nnz_block_per_rowILj128ELj8ELj512ELj79EliEEvPKT4_S3_PKT3_S3_S6_S3_S6_S3_PS4_21rocsparse_index_base_S8_S8_bb,@function
_ZN9rocsparseL25csrgemm_nnz_block_per_rowILj128ELj8ELj512ELj79EliEEvPKT4_S3_PKT3_S3_S6_S3_S6_S3_PS4_21rocsparse_index_base_S8_S8_bb: ; @_ZN9rocsparseL25csrgemm_nnz_block_per_rowILj128ELj8ELj512ELj79EliEEvPKT4_S3_PKT3_S3_S6_S3_S6_S3_PS4_21rocsparse_index_base_S8_S8_bb
; %bb.0:
	s_load_b256 s[16:23], s[0:1], 0x0
	s_mov_b32 s3, 0
	v_lshl_add_u32 v7, v0, 2, 0
	s_waitcnt lgkmcnt(0)
	s_load_b32 s2, s[16:17], 0x0
	s_load_b64 s[16:17], s[0:1], 0x40
	s_waitcnt lgkmcnt(0)
	s_add_i32 s2, s2, s15
	s_delay_alu instid0(SALU_CYCLE_1)
	s_lshl_b64 s[4:5], s[2:3], 2
	s_mov_b32 s2, exec_lo
	s_add_u32 s12, s18, s4
	s_addc_u32 s13, s19, s5
	s_load_b256 s[4:11], s[0:1], 0x20
	s_load_b32 s18, s[12:13], 0x0
	v_cmpx_gt_u32_e32 0x200, v0
	s_cbranch_execz .LBB33_3
; %bb.1:
	v_or_b32_e32 v1, 0xffffff80, v0
	v_dual_mov_b32 v2, -1 :: v_dual_mov_b32 v3, v7
.LBB33_2:                               ; =>This Inner Loop Header: Depth=1
	s_delay_alu instid0(VALU_DEP_2) | instskip(SKIP_4) | instid1(SALU_CYCLE_1)
	v_add_nc_u32_e32 v1, 0x80, v1
	ds_store_b32 v3, v2
	v_add_nc_u32_e32 v3, 0x200, v3
	v_cmp_lt_u32_e32 vcc_lo, 0x17f, v1
	s_or_b32 s3, vcc_lo, s3
	s_and_not1_b32 exec_lo, exec_lo, s3
	s_cbranch_execnz .LBB33_2
.LBB33_3:
	s_or_b32 exec_lo, exec_lo, s2
	s_load_b128 s[12:15], s[0:1], 0x48
	v_dual_mov_b32 v10, 0 :: v_dual_and_b32 v9, 7, v0
	v_lshrrev_b32_e32 v8, 3, v0
	s_waitcnt lgkmcnt(0)
	s_barrier
	buffer_gl0_inv
	s_bitcmp1_b32 s15, 0
	s_cselect_b32 s2, -1, 0
	s_delay_alu instid0(SALU_CYCLE_1)
	s_and_b32 vcc_lo, exec_lo, s2
	s_cbranch_vccz .LBB33_21
; %bb.4:
	s_ashr_i32 s19, s18, 31
	v_mov_b32_e32 v10, 0
	s_lshl_b64 s[2:3], s[18:19], 3
	s_mov_b32 s15, 0
	s_add_u32 s2, s20, s2
	s_addc_u32 s3, s21, s3
	s_load_b128 s[24:27], s[2:3], 0x0
	v_sub_co_u32 v1, s2, v8, s12
	s_delay_alu instid0(VALU_DEP_1) | instskip(SKIP_2) | instid1(VALU_DEP_2)
	v_sub_co_ci_u32_e64 v2, null, 0, 0, s2
	s_mov_b32 s3, exec_lo
	s_waitcnt lgkmcnt(0)
	v_add_co_u32 v1, vcc_lo, v1, s24
	s_delay_alu instid0(VALU_DEP_2)
	v_add_co_ci_u32_e32 v2, vcc_lo, s25, v2, vcc_lo
	s_sub_u32 s20, s26, s12
	s_subb_u32 s21, s27, 0
	s_delay_alu instid0(VALU_DEP_1) | instid1(SALU_CYCLE_1)
	v_cmpx_gt_i64_e64 s[20:21], v[1:2]
	s_cbranch_execz .LBB33_20
; %bb.5:
	v_sub_co_u32 v11, s2, v9, s13
	v_dual_mov_b32 v10, 0 :: v_dual_mov_b32 v13, -1
	v_sub_co_ci_u32_e64 v12, null, 0, 0, s2
	s_mov_b32 s19, s13
	s_branch .LBB33_8
.LBB33_6:                               ;   in Loop: Header=BB33_8 Depth=1
	s_or_b32 exec_lo, exec_lo, s25
.LBB33_7:                               ;   in Loop: Header=BB33_8 Depth=1
	s_delay_alu instid0(SALU_CYCLE_1) | instskip(SKIP_2) | instid1(VALU_DEP_1)
	s_or_b32 exec_lo, exec_lo, s24
	v_add_co_u32 v1, vcc_lo, v1, 16
	v_add_co_ci_u32_e32 v2, vcc_lo, 0, v2, vcc_lo
	v_cmp_le_i64_e32 vcc_lo, s[20:21], v[1:2]
	s_or_b32 s15, vcc_lo, s15
	s_delay_alu instid0(SALU_CYCLE_1)
	s_and_not1_b32 exec_lo, exec_lo, s15
	s_cbranch_execz .LBB33_19
.LBB33_8:                               ; =>This Loop Header: Depth=1
                                        ;     Child Loop BB33_11 Depth 2
                                        ;       Child Loop BB33_14 Depth 3
	v_lshlrev_b64 v[3:4], 2, v[1:2]
	s_mov_b32 s24, exec_lo
	s_delay_alu instid0(VALU_DEP_1) | instskip(NEXT) | instid1(VALU_DEP_2)
	v_add_co_u32 v3, vcc_lo, s22, v3
	v_add_co_ci_u32_e32 v4, vcc_lo, s23, v4, vcc_lo
	global_load_b32 v3, v[3:4], off
	s_waitcnt vmcnt(0)
	v_subrev_nc_u32_e32 v3, s12, v3
	s_delay_alu instid0(VALU_DEP_1) | instskip(NEXT) | instid1(VALU_DEP_1)
	v_ashrrev_i32_e32 v4, 31, v3
	v_lshlrev_b64 v[3:4], 3, v[3:4]
	s_delay_alu instid0(VALU_DEP_1) | instskip(NEXT) | instid1(VALU_DEP_2)
	v_add_co_u32 v3, vcc_lo, s4, v3
	v_add_co_ci_u32_e32 v4, vcc_lo, s5, v4, vcc_lo
	global_load_b128 v[14:17], v[3:4], off
	s_waitcnt vmcnt(0)
	v_sub_co_u32 v3, vcc_lo, v16, s19
	v_subrev_co_ci_u32_e32 v4, vcc_lo, 0, v17, vcc_lo
	v_add_co_u32 v5, vcc_lo, v11, v14
	v_add_co_ci_u32_e32 v6, vcc_lo, v12, v15, vcc_lo
	s_delay_alu instid0(VALU_DEP_1)
	v_cmpx_lt_i64_e64 v[5:6], v[3:4]
	s_cbranch_execz .LBB33_7
; %bb.9:                                ;   in Loop: Header=BB33_8 Depth=1
	s_mov_b32 s25, 0
	s_branch .LBB33_11
.LBB33_10:                              ;   in Loop: Header=BB33_11 Depth=2
	s_or_b32 exec_lo, exec_lo, s27
	v_add_co_u32 v5, vcc_lo, v5, 8
	v_add_co_ci_u32_e32 v6, vcc_lo, 0, v6, vcc_lo
	v_cndmask_b32_e64 v14, 0, 1, s26
	s_delay_alu instid0(VALU_DEP_2) | instskip(NEXT) | instid1(VALU_DEP_2)
	v_cmp_ge_i64_e32 vcc_lo, v[5:6], v[3:4]
	v_add_nc_u32_e32 v10, v10, v14
	s_or_b32 s25, vcc_lo, s25
	s_delay_alu instid0(SALU_CYCLE_1)
	s_and_not1_b32 exec_lo, exec_lo, s25
	s_cbranch_execz .LBB33_6
.LBB33_11:                              ;   Parent Loop BB33_8 Depth=1
                                        ; =>  This Loop Header: Depth=2
                                        ;       Child Loop BB33_14 Depth 3
	v_lshlrev_b64 v[14:15], 2, v[5:6]
	s_mov_b32 s27, 0
                                        ; implicit-def: $sgpr26
                                        ; implicit-def: $sgpr28
                                        ; implicit-def: $sgpr29
                                        ; implicit-def: $sgpr30
	s_delay_alu instid0(VALU_DEP_1) | instskip(NEXT) | instid1(VALU_DEP_2)
	v_add_co_u32 v14, vcc_lo, s6, v14
	v_add_co_ci_u32_e32 v15, vcc_lo, s7, v15, vcc_lo
	global_load_b32 v14, v[14:15], off
	s_waitcnt vmcnt(0)
	v_subrev_nc_u32_e32 v14, s13, v14
	s_delay_alu instid0(VALU_DEP_1) | instskip(NEXT) | instid1(VALU_DEP_1)
	v_mul_lo_u32 v15, 0x4f, v14
	v_and_b32_e32 v15, 0x1ff, v15
	s_branch .LBB33_14
.LBB33_12:                              ;   in Loop: Header=BB33_14 Depth=3
	s_or_b32 exec_lo, exec_lo, s35
	s_delay_alu instid0(SALU_CYCLE_1)
	s_and_not1_b32 s2, s29, exec_lo
	s_and_b32 s29, s33, exec_lo
	s_and_not1_b32 s28, s28, exec_lo
	s_and_b32 s30, s34, exec_lo
	s_or_b32 s29, s2, s29
	s_or_b32 s28, s28, s30
                                        ; implicit-def: $sgpr30
.LBB33_13:                              ;   in Loop: Header=BB33_14 Depth=3
	s_or_b32 exec_lo, exec_lo, s31
	s_xor_b32 s2, s28, -1
	s_delay_alu instid0(SALU_CYCLE_1) | instskip(NEXT) | instid1(SALU_CYCLE_1)
	s_and_b32 s2, exec_lo, s2
	s_or_b32 s27, s2, s27
	s_and_not1_b32 s2, s30, exec_lo
	s_and_b32 s31, s29, exec_lo
	s_and_not1_b32 s26, s26, exec_lo
	s_or_b32 s30, s2, s31
	s_or_b32 s26, s26, s31
	s_and_not1_b32 exec_lo, exec_lo, s27
	s_cbranch_execz .LBB33_10
.LBB33_14:                              ;   Parent Loop BB33_8 Depth=1
                                        ;     Parent Loop BB33_11 Depth=2
                                        ; =>    This Inner Loop Header: Depth=3
	s_delay_alu instid0(VALU_DEP_1)
	v_lshl_add_u32 v16, v15, 2, 0
	s_and_not1_b32 s29, s29, exec_lo
	s_and_not1_b32 s28, s28, exec_lo
	s_mov_b32 s31, exec_lo
	ds_load_b32 v17, v16
	s_waitcnt lgkmcnt(0)
	v_cmpx_ne_u32_e64 v17, v14
	s_cbranch_execz .LBB33_13
; %bb.15:                               ;   in Loop: Header=BB33_14 Depth=3
	s_mov_b32 s2, exec_lo
                                        ; implicit-def: $sgpr33
                                        ; implicit-def: $sgpr34
	v_cmpx_ne_u32_e32 -1, v17
	s_xor_b32 s2, exec_lo, s2
; %bb.16:                               ;   in Loop: Header=BB33_14 Depth=3
	v_add_nc_u32_e32 v15, 1, v15
	s_mov_b32 s34, -1
	s_and_b32 s33, s30, exec_lo
                                        ; implicit-def: $vgpr16
	s_delay_alu instid0(VALU_DEP_1)
	v_and_b32_e32 v15, 0x1ff, v15
; %bb.17:                               ;   in Loop: Header=BB33_14 Depth=3
	s_and_not1_saveexec_b32 s35, s2
	s_cbranch_execz .LBB33_12
; %bb.18:                               ;   in Loop: Header=BB33_14 Depth=3
	ds_cmpstore_rtn_b32 v16, v16, v14, v13
	s_and_not1_b32 s34, s34, exec_lo
	s_and_not1_b32 s33, s33, exec_lo
	s_waitcnt lgkmcnt(0)
	v_cmp_eq_u32_e32 vcc_lo, -1, v16
	v_cmp_ne_u32_e64 s2, -1, v16
	s_or_b32 s30, vcc_lo, s30
	s_delay_alu instid0(VALU_DEP_1)
	s_and_b32 s2, s2, exec_lo
	s_and_b32 s30, s30, exec_lo
	s_or_b32 s34, s34, s2
	s_or_b32 s33, s33, s30
	s_branch .LBB33_12
.LBB33_19:
	s_or_b32 exec_lo, exec_lo, s15
.LBB33_20:
	s_delay_alu instid0(SALU_CYCLE_1)
	s_or_b32 exec_lo, exec_lo, s3
.LBB33_21:
	s_load_b32 s0, s[0:1], 0x54
	s_waitcnt lgkmcnt(0)
	s_bfe_u32 s0, s0, 0x10008
	s_delay_alu instid0(SALU_CYCLE_1)
	s_cmp_eq_u32 s0, 0
	s_cbranch_scc1 .LBB33_35
; %bb.22:
	s_ashr_i32 s19, s18, 31
	v_sub_co_u32 v1, s4, v8, s14
	s_lshl_b64 s[0:1], s[18:19], 3
	v_sub_co_ci_u32_e64 v2, null, 0, 0, s4
	s_add_u32 s0, s8, s0
	s_addc_u32 s1, s9, s1
	s_load_b128 s[0:3], s[0:1], 0x0
	s_waitcnt lgkmcnt(0)
	v_add_co_u32 v1, vcc_lo, v1, s0
	v_add_co_ci_u32_e32 v2, vcc_lo, s1, v2, vcc_lo
	s_sub_u32 s2, s2, s14
	s_subb_u32 s3, s3, 0
	s_mov_b32 s1, exec_lo
	s_delay_alu instid0(VALU_DEP_1)
	v_cmpx_gt_i64_e64 s[2:3], v[1:2]
	s_cbranch_execz .LBB33_34
; %bb.23:
	v_mov_b32_e32 v3, -1
	s_mov_b32 s4, 0
	s_branch .LBB33_25
.LBB33_24:                              ;   in Loop: Header=BB33_25 Depth=1
	s_or_b32 exec_lo, exec_lo, s6
	v_add_co_u32 v1, vcc_lo, v1, 16
	v_add_co_ci_u32_e32 v2, vcc_lo, 0, v2, vcc_lo
	v_cndmask_b32_e64 v4, 0, 1, s5
	s_delay_alu instid0(VALU_DEP_2) | instskip(NEXT) | instid1(VALU_DEP_2)
	v_cmp_le_i64_e32 vcc_lo, s[2:3], v[1:2]
	v_add_nc_u32_e32 v10, v10, v4
	s_or_b32 s4, vcc_lo, s4
	s_delay_alu instid0(SALU_CYCLE_1)
	s_and_not1_b32 exec_lo, exec_lo, s4
	s_cbranch_execz .LBB33_33
.LBB33_25:                              ; =>This Loop Header: Depth=1
                                        ;     Child Loop BB33_28 Depth 2
	v_lshlrev_b64 v[4:5], 2, v[1:2]
	s_mov_b32 s6, 0
                                        ; implicit-def: $sgpr5
                                        ; implicit-def: $sgpr7
                                        ; implicit-def: $sgpr8
                                        ; implicit-def: $sgpr9
	s_delay_alu instid0(VALU_DEP_1) | instskip(NEXT) | instid1(VALU_DEP_2)
	v_add_co_u32 v4, vcc_lo, s10, v4
	v_add_co_ci_u32_e32 v5, vcc_lo, s11, v5, vcc_lo
	global_load_b32 v4, v[4:5], off
	s_waitcnt vmcnt(0)
	v_subrev_nc_u32_e32 v4, s14, v4
	s_delay_alu instid0(VALU_DEP_1) | instskip(NEXT) | instid1(VALU_DEP_1)
	v_mul_lo_u32 v5, 0x4f, v4
	v_and_b32_e32 v5, 0x1ff, v5
	s_branch .LBB33_28
.LBB33_26:                              ;   in Loop: Header=BB33_28 Depth=2
	s_or_b32 exec_lo, exec_lo, s19
	s_delay_alu instid0(SALU_CYCLE_1)
	s_and_not1_b32 s0, s8, exec_lo
	s_and_b32 s8, s13, exec_lo
	s_and_not1_b32 s7, s7, exec_lo
	s_and_b32 s9, s15, exec_lo
	s_or_b32 s8, s0, s8
	s_or_b32 s7, s7, s9
                                        ; implicit-def: $sgpr9
.LBB33_27:                              ;   in Loop: Header=BB33_28 Depth=2
	s_or_b32 exec_lo, exec_lo, s12
	s_xor_b32 s0, s7, -1
	s_delay_alu instid0(SALU_CYCLE_1) | instskip(NEXT) | instid1(SALU_CYCLE_1)
	s_and_b32 s0, exec_lo, s0
	s_or_b32 s6, s0, s6
	s_and_not1_b32 s0, s9, exec_lo
	s_and_b32 s12, s8, exec_lo
	s_and_not1_b32 s5, s5, exec_lo
	s_or_b32 s9, s0, s12
	s_or_b32 s5, s5, s12
	s_and_not1_b32 exec_lo, exec_lo, s6
	s_cbranch_execz .LBB33_24
.LBB33_28:                              ;   Parent Loop BB33_25 Depth=1
                                        ; =>  This Inner Loop Header: Depth=2
	s_delay_alu instid0(VALU_DEP_1)
	v_lshl_add_u32 v6, v5, 2, 0
	s_and_not1_b32 s8, s8, exec_lo
	s_and_not1_b32 s7, s7, exec_lo
	s_mov_b32 s12, exec_lo
	ds_load_b32 v11, v6
	s_waitcnt lgkmcnt(0)
	v_cmpx_ne_u32_e64 v11, v4
	s_cbranch_execz .LBB33_27
; %bb.29:                               ;   in Loop: Header=BB33_28 Depth=2
	s_mov_b32 s0, exec_lo
                                        ; implicit-def: $sgpr13
                                        ; implicit-def: $sgpr15
	v_cmpx_ne_u32_e32 -1, v11
	s_xor_b32 s0, exec_lo, s0
; %bb.30:                               ;   in Loop: Header=BB33_28 Depth=2
	v_add_nc_u32_e32 v5, 1, v5
	s_mov_b32 s15, -1
	s_and_b32 s13, s9, exec_lo
                                        ; implicit-def: $vgpr6
	s_delay_alu instid0(VALU_DEP_1)
	v_and_b32_e32 v5, 0x1ff, v5
; %bb.31:                               ;   in Loop: Header=BB33_28 Depth=2
	s_and_not1_saveexec_b32 s19, s0
	s_cbranch_execz .LBB33_26
; %bb.32:                               ;   in Loop: Header=BB33_28 Depth=2
	ds_cmpstore_rtn_b32 v6, v6, v4, v3
	s_and_not1_b32 s15, s15, exec_lo
	s_and_not1_b32 s13, s13, exec_lo
	s_waitcnt lgkmcnt(0)
	v_cmp_eq_u32_e32 vcc_lo, -1, v6
	v_cmp_ne_u32_e64 s0, -1, v6
	s_or_b32 s9, vcc_lo, s9
	s_delay_alu instid0(VALU_DEP_1)
	s_and_b32 s0, s0, exec_lo
	s_and_b32 s9, s9, exec_lo
	s_or_b32 s15, s15, s0
	s_or_b32 s13, s13, s9
	s_branch .LBB33_26
.LBB33_33:
	s_or_b32 exec_lo, exec_lo, s4
.LBB33_34:
	s_delay_alu instid0(SALU_CYCLE_1)
	s_or_b32 exec_lo, exec_lo, s1
.LBB33_35:
	v_mbcnt_lo_u32_b32 v1, -1, 0
	s_mov_b32 s0, exec_lo
	s_barrier
	buffer_gl0_inv
	v_xor_b32_e32 v2, 4, v1
	v_xor_b32_e32 v3, 2, v1
	;; [unrolled: 1-line block ×3, first 2 shown]
	s_delay_alu instid0(VALU_DEP_3) | instskip(SKIP_1) | instid1(VALU_DEP_4)
	v_cmp_gt_i32_e32 vcc_lo, 32, v2
	v_cndmask_b32_e32 v2, v1, v2, vcc_lo
	v_cmp_gt_i32_e32 vcc_lo, 32, v3
	v_cndmask_b32_e32 v3, v1, v3, vcc_lo
	v_cmp_gt_i32_e32 vcc_lo, 32, v6
	s_delay_alu instid0(VALU_DEP_2)
	v_lshlrev_b32_e32 v3, 2, v3
	v_lshlrev_b32_e32 v2, 2, v2
	v_cndmask_b32_e32 v6, v1, v6, vcc_lo
	ds_bpermute_b32 v4, v2, v10
	s_waitcnt lgkmcnt(0)
	v_add_nc_u32_e32 v4, v4, v10
	ds_bpermute_b32 v5, v3, v4
	s_waitcnt lgkmcnt(0)
	v_add_nc_u32_e32 v5, v5, v4
	v_lshlrev_b32_e32 v4, 2, v6
	ds_bpermute_b32 v6, v4, v5
	v_cmpx_eq_u32_e32 7, v9
	s_cbranch_execz .LBB33_37
; %bb.36:
	v_lshl_add_u32 v8, v8, 2, 0
	s_waitcnt lgkmcnt(0)
	v_add_nc_u32_e32 v5, v6, v5
	ds_store_b32 v8, v5
.LBB33_37:
	s_or_b32 exec_lo, exec_lo, s0
	v_mov_b32_e32 v5, 0
	s_mov_b32 s0, exec_lo
	s_waitcnt lgkmcnt(0)
	s_barrier
	buffer_gl0_inv
	v_cmpx_gt_u32_e32 16, v0
	s_cbranch_execz .LBB33_39
; %bb.38:
	ds_load_b32 v5, v7
.LBB33_39:
	s_or_b32 exec_lo, exec_lo, s0
	v_xor_b32_e32 v6, 8, v1
	s_mov_b32 s0, exec_lo
	s_delay_alu instid0(VALU_DEP_1) | instskip(SKIP_1) | instid1(VALU_DEP_1)
	v_cmp_gt_i32_e32 vcc_lo, 32, v6
	v_cndmask_b32_e32 v1, v1, v6, vcc_lo
	v_lshlrev_b32_e32 v1, 2, v1
	s_waitcnt lgkmcnt(0)
	ds_bpermute_b32 v1, v1, v5
	s_waitcnt lgkmcnt(0)
	v_add_nc_u32_e32 v1, v1, v5
	ds_bpermute_b32 v2, v2, v1
	s_waitcnt lgkmcnt(0)
	v_add_nc_u32_e32 v1, v2, v1
	;; [unrolled: 3-line block ×3, first 2 shown]
	ds_bpermute_b32 v2, v4, v1
	v_cmpx_eq_u32_e32 15, v0
	s_cbranch_execz .LBB33_41
; %bb.40:
	s_waitcnt lgkmcnt(0)
	v_add_nc_u32_e32 v0, v2, v1
	s_ashr_i32 s19, s18, 31
	v_mov_b32_e32 v2, 0
	s_lshl_b64 s[0:1], s[18:19], 3
	s_delay_alu instid0(SALU_CYCLE_1)
	s_add_u32 s0, s16, s0
	v_ashrrev_i32_e32 v1, 31, v0
	s_addc_u32 s1, s17, s1
	global_store_b64 v2, v[0:1], s[0:1]
.LBB33_41:
	s_nop 0
	s_sendmsg sendmsg(MSG_DEALLOC_VGPRS)
	s_endpgm
	.section	.rodata,"a",@progbits
	.p2align	6, 0x0
	.amdhsa_kernel _ZN9rocsparseL25csrgemm_nnz_block_per_rowILj128ELj8ELj512ELj79EliEEvPKT4_S3_PKT3_S3_S6_S3_S6_S3_PS4_21rocsparse_index_base_S8_S8_bb
		.amdhsa_group_segment_fixed_size 0
		.amdhsa_private_segment_fixed_size 0
		.amdhsa_kernarg_size 88
		.amdhsa_user_sgpr_count 15
		.amdhsa_user_sgpr_dispatch_ptr 0
		.amdhsa_user_sgpr_queue_ptr 0
		.amdhsa_user_sgpr_kernarg_segment_ptr 1
		.amdhsa_user_sgpr_dispatch_id 0
		.amdhsa_user_sgpr_private_segment_size 0
		.amdhsa_wavefront_size32 1
		.amdhsa_uses_dynamic_stack 0
		.amdhsa_enable_private_segment 0
		.amdhsa_system_sgpr_workgroup_id_x 1
		.amdhsa_system_sgpr_workgroup_id_y 0
		.amdhsa_system_sgpr_workgroup_id_z 0
		.amdhsa_system_sgpr_workgroup_info 0
		.amdhsa_system_vgpr_workitem_id 0
		.amdhsa_next_free_vgpr 18
		.amdhsa_next_free_sgpr 36
		.amdhsa_reserve_vcc 1
		.amdhsa_float_round_mode_32 0
		.amdhsa_float_round_mode_16_64 0
		.amdhsa_float_denorm_mode_32 3
		.amdhsa_float_denorm_mode_16_64 3
		.amdhsa_dx10_clamp 1
		.amdhsa_ieee_mode 1
		.amdhsa_fp16_overflow 0
		.amdhsa_workgroup_processor_mode 1
		.amdhsa_memory_ordered 1
		.amdhsa_forward_progress 0
		.amdhsa_shared_vgpr_count 0
		.amdhsa_exception_fp_ieee_invalid_op 0
		.amdhsa_exception_fp_denorm_src 0
		.amdhsa_exception_fp_ieee_div_zero 0
		.amdhsa_exception_fp_ieee_overflow 0
		.amdhsa_exception_fp_ieee_underflow 0
		.amdhsa_exception_fp_ieee_inexact 0
		.amdhsa_exception_int_div_zero 0
	.end_amdhsa_kernel
	.section	.text._ZN9rocsparseL25csrgemm_nnz_block_per_rowILj128ELj8ELj512ELj79EliEEvPKT4_S3_PKT3_S3_S6_S3_S6_S3_PS4_21rocsparse_index_base_S8_S8_bb,"axG",@progbits,_ZN9rocsparseL25csrgemm_nnz_block_per_rowILj128ELj8ELj512ELj79EliEEvPKT4_S3_PKT3_S3_S6_S3_S6_S3_PS4_21rocsparse_index_base_S8_S8_bb,comdat
.Lfunc_end33:
	.size	_ZN9rocsparseL25csrgemm_nnz_block_per_rowILj128ELj8ELj512ELj79EliEEvPKT4_S3_PKT3_S3_S6_S3_S6_S3_PS4_21rocsparse_index_base_S8_S8_bb, .Lfunc_end33-_ZN9rocsparseL25csrgemm_nnz_block_per_rowILj128ELj8ELj512ELj79EliEEvPKT4_S3_PKT3_S3_S6_S3_S6_S3_PS4_21rocsparse_index_base_S8_S8_bb
                                        ; -- End function
	.section	.AMDGPU.csdata,"",@progbits
; Kernel info:
; codeLenInByte = 1744
; NumSgprs: 38
; NumVgprs: 18
; ScratchSize: 0
; MemoryBound: 0
; FloatMode: 240
; IeeeMode: 1
; LDSByteSize: 0 bytes/workgroup (compile time only)
; SGPRBlocks: 4
; VGPRBlocks: 2
; NumSGPRsForWavesPerEU: 38
; NumVGPRsForWavesPerEU: 18
; Occupancy: 16
; WaveLimiterHint : 1
; COMPUTE_PGM_RSRC2:SCRATCH_EN: 0
; COMPUTE_PGM_RSRC2:USER_SGPR: 15
; COMPUTE_PGM_RSRC2:TRAP_HANDLER: 0
; COMPUTE_PGM_RSRC2:TGID_X_EN: 1
; COMPUTE_PGM_RSRC2:TGID_Y_EN: 0
; COMPUTE_PGM_RSRC2:TGID_Z_EN: 0
; COMPUTE_PGM_RSRC2:TIDIG_COMP_CNT: 0
	.section	.text._ZN9rocsparseL25csrgemm_nnz_block_per_rowILj128ELj8ELj1024ELj79EliEEvPKT4_S3_PKT3_S3_S6_S3_S6_S3_PS4_21rocsparse_index_base_S8_S8_bb,"axG",@progbits,_ZN9rocsparseL25csrgemm_nnz_block_per_rowILj128ELj8ELj1024ELj79EliEEvPKT4_S3_PKT3_S3_S6_S3_S6_S3_PS4_21rocsparse_index_base_S8_S8_bb,comdat
	.globl	_ZN9rocsparseL25csrgemm_nnz_block_per_rowILj128ELj8ELj1024ELj79EliEEvPKT4_S3_PKT3_S3_S6_S3_S6_S3_PS4_21rocsparse_index_base_S8_S8_bb ; -- Begin function _ZN9rocsparseL25csrgemm_nnz_block_per_rowILj128ELj8ELj1024ELj79EliEEvPKT4_S3_PKT3_S3_S6_S3_S6_S3_PS4_21rocsparse_index_base_S8_S8_bb
	.p2align	8
	.type	_ZN9rocsparseL25csrgemm_nnz_block_per_rowILj128ELj8ELj1024ELj79EliEEvPKT4_S3_PKT3_S3_S6_S3_S6_S3_PS4_21rocsparse_index_base_S8_S8_bb,@function
_ZN9rocsparseL25csrgemm_nnz_block_per_rowILj128ELj8ELj1024ELj79EliEEvPKT4_S3_PKT3_S3_S6_S3_S6_S3_PS4_21rocsparse_index_base_S8_S8_bb: ; @_ZN9rocsparseL25csrgemm_nnz_block_per_rowILj128ELj8ELj1024ELj79EliEEvPKT4_S3_PKT3_S3_S6_S3_S6_S3_PS4_21rocsparse_index_base_S8_S8_bb
; %bb.0:
	s_load_b128 s[4:7], s[0:1], 0x0
	s_mov_b32 s3, 0
	v_lshl_add_u32 v7, v0, 2, 0
	v_mov_b32_e32 v1, -1
	ds_store_b32 v7, v1
	s_waitcnt lgkmcnt(0)
	s_load_b32 s2, s[4:5], 0x0
	s_waitcnt lgkmcnt(0)
	s_add_i32 s2, s2, s15
	s_delay_alu instid0(SALU_CYCLE_1) | instskip(NEXT) | instid1(SALU_CYCLE_1)
	s_lshl_b64 s[2:3], s[2:3], 2
	s_add_u32 s2, s6, s2
	s_addc_u32 s3, s7, s3
	s_load_b32 s12, s[2:3], 0x0
	s_mov_b32 s2, exec_lo
	v_cmpx_gt_u32_e32 0x380, v0
	s_cbranch_execz .LBB34_8
; %bb.1:
	ds_store_b32 v7, v1 offset:512
	s_mov_b32 s3, exec_lo
	v_cmpx_gt_u32_e32 0x300, v0
	s_xor_b32 s3, exec_lo, s3
	s_cbranch_execz .LBB34_8
; %bb.2:
	v_mov_b32_e32 v1, -1
	s_mov_b32 s3, exec_lo
	ds_store_b32 v7, v1 offset:1024
	v_cmpx_gt_u32_e32 0x280, v0
	s_xor_b32 s3, exec_lo, s3
	s_cbranch_execz .LBB34_8
; %bb.3:
	ds_store_b32 v7, v1 offset:1536
	s_mov_b32 s3, exec_lo
	v_cmpx_gt_u32_e32 0x200, v0
	s_xor_b32 s3, exec_lo, s3
	s_cbranch_execz .LBB34_8
; %bb.4:
	v_mov_b32_e32 v1, -1
	s_mov_b32 s3, exec_lo
	ds_store_b32 v7, v1 offset:2048
	v_cmpx_gt_u32_e32 0x180, v0
	s_xor_b32 s3, exec_lo, s3
	;; [unrolled: 13-line block ×3, first 2 shown]
	s_cbranch_execz .LBB34_8
; %bb.7:
	ds_store_b32 v7, v1 offset:3584
.LBB34_8:
	s_or_b32 exec_lo, exec_lo, s2
	s_load_b128 s[4:7], s[0:1], 0x48
	v_dual_mov_b32 v10, 0 :: v_dual_and_b32 v9, 7, v0
	v_lshrrev_b32_e32 v8, 3, v0
	s_waitcnt lgkmcnt(0)
	s_barrier
	buffer_gl0_inv
	s_bitcmp1_b32 s7, 0
	s_cselect_b32 s2, -1, 0
	s_delay_alu instid0(SALU_CYCLE_1)
	s_and_b32 vcc_lo, exec_lo, s2
	s_cbranch_vccz .LBB34_26
; %bb.9:
	s_load_b64 s[2:3], s[0:1], 0x10
	s_ashr_i32 s13, s12, 31
	v_mov_b32_e32 v10, 0
	s_lshl_b64 s[8:9], s[12:13], 3
	s_mov_b32 s7, 0
	s_waitcnt lgkmcnt(0)
	s_add_u32 s2, s2, s8
	s_addc_u32 s3, s3, s9
	s_load_b128 s[8:11], s[2:3], 0x0
	v_sub_co_u32 v1, s2, v8, s4
	s_delay_alu instid0(VALU_DEP_1) | instskip(SKIP_2) | instid1(VALU_DEP_2)
	v_sub_co_ci_u32_e64 v2, null, 0, 0, s2
	s_mov_b32 s3, exec_lo
	s_waitcnt lgkmcnt(0)
	v_add_co_u32 v1, vcc_lo, v1, s8
	s_delay_alu instid0(VALU_DEP_2)
	v_add_co_ci_u32_e32 v2, vcc_lo, s9, v2, vcc_lo
	s_sub_u32 s14, s10, s4
	s_subb_u32 s15, s11, 0
	s_delay_alu instid0(VALU_DEP_1) | instid1(SALU_CYCLE_1)
	v_cmpx_gt_i64_e64 s[14:15], v[1:2]
	s_cbranch_execz .LBB34_25
; %bb.10:
	s_clause 0x1
	s_load_b128 s[8:11], s[0:1], 0x18
	s_load_b64 s[16:17], s[0:1], 0x28
	v_sub_co_u32 v11, s2, v9, s5
	v_dual_mov_b32 v10, 0 :: v_dual_mov_b32 v13, -1
	v_sub_co_ci_u32_e64 v12, null, 0, 0, s2
	s_mov_b32 s13, s5
	s_branch .LBB34_13
.LBB34_11:                              ;   in Loop: Header=BB34_13 Depth=1
	s_or_b32 exec_lo, exec_lo, s19
.LBB34_12:                              ;   in Loop: Header=BB34_13 Depth=1
	s_delay_alu instid0(SALU_CYCLE_1) | instskip(SKIP_2) | instid1(VALU_DEP_1)
	s_or_b32 exec_lo, exec_lo, s18
	v_add_co_u32 v1, vcc_lo, v1, 16
	v_add_co_ci_u32_e32 v2, vcc_lo, 0, v2, vcc_lo
	v_cmp_le_i64_e32 vcc_lo, s[14:15], v[1:2]
	s_or_b32 s7, vcc_lo, s7
	s_delay_alu instid0(SALU_CYCLE_1)
	s_and_not1_b32 exec_lo, exec_lo, s7
	s_cbranch_execz .LBB34_24
.LBB34_13:                              ; =>This Loop Header: Depth=1
                                        ;     Child Loop BB34_16 Depth 2
                                        ;       Child Loop BB34_19 Depth 3
	v_lshlrev_b64 v[3:4], 2, v[1:2]
	s_mov_b32 s18, exec_lo
	s_waitcnt lgkmcnt(0)
	s_delay_alu instid0(VALU_DEP_1) | instskip(NEXT) | instid1(VALU_DEP_2)
	v_add_co_u32 v3, vcc_lo, s8, v3
	v_add_co_ci_u32_e32 v4, vcc_lo, s9, v4, vcc_lo
	global_load_b32 v3, v[3:4], off
	s_waitcnt vmcnt(0)
	v_subrev_nc_u32_e32 v3, s4, v3
	s_delay_alu instid0(VALU_DEP_1) | instskip(NEXT) | instid1(VALU_DEP_1)
	v_ashrrev_i32_e32 v4, 31, v3
	v_lshlrev_b64 v[3:4], 3, v[3:4]
	s_delay_alu instid0(VALU_DEP_1) | instskip(NEXT) | instid1(VALU_DEP_2)
	v_add_co_u32 v3, vcc_lo, s10, v3
	v_add_co_ci_u32_e32 v4, vcc_lo, s11, v4, vcc_lo
	global_load_b128 v[14:17], v[3:4], off
	s_waitcnt vmcnt(0)
	v_sub_co_u32 v3, vcc_lo, v16, s13
	v_subrev_co_ci_u32_e32 v4, vcc_lo, 0, v17, vcc_lo
	v_add_co_u32 v5, vcc_lo, v11, v14
	v_add_co_ci_u32_e32 v6, vcc_lo, v12, v15, vcc_lo
	s_delay_alu instid0(VALU_DEP_1)
	v_cmpx_lt_i64_e64 v[5:6], v[3:4]
	s_cbranch_execz .LBB34_12
; %bb.14:                               ;   in Loop: Header=BB34_13 Depth=1
	s_mov_b32 s19, 0
	s_branch .LBB34_16
.LBB34_15:                              ;   in Loop: Header=BB34_16 Depth=2
	s_or_b32 exec_lo, exec_lo, s21
	v_add_co_u32 v5, vcc_lo, v5, 8
	v_add_co_ci_u32_e32 v6, vcc_lo, 0, v6, vcc_lo
	v_cndmask_b32_e64 v14, 0, 1, s20
	s_delay_alu instid0(VALU_DEP_2) | instskip(NEXT) | instid1(VALU_DEP_2)
	v_cmp_ge_i64_e32 vcc_lo, v[5:6], v[3:4]
	v_add_nc_u32_e32 v10, v10, v14
	s_or_b32 s19, vcc_lo, s19
	s_delay_alu instid0(SALU_CYCLE_1)
	s_and_not1_b32 exec_lo, exec_lo, s19
	s_cbranch_execz .LBB34_11
.LBB34_16:                              ;   Parent Loop BB34_13 Depth=1
                                        ; =>  This Loop Header: Depth=2
                                        ;       Child Loop BB34_19 Depth 3
	v_lshlrev_b64 v[14:15], 2, v[5:6]
	s_mov_b32 s21, 0
                                        ; implicit-def: $sgpr20
                                        ; implicit-def: $sgpr22
                                        ; implicit-def: $sgpr23
                                        ; implicit-def: $sgpr24
	s_delay_alu instid0(VALU_DEP_1) | instskip(NEXT) | instid1(VALU_DEP_2)
	v_add_co_u32 v14, vcc_lo, s16, v14
	v_add_co_ci_u32_e32 v15, vcc_lo, s17, v15, vcc_lo
	global_load_b32 v14, v[14:15], off
	s_waitcnt vmcnt(0)
	v_subrev_nc_u32_e32 v14, s5, v14
	s_delay_alu instid0(VALU_DEP_1) | instskip(NEXT) | instid1(VALU_DEP_1)
	v_mul_lo_u32 v15, 0x4f, v14
	v_and_b32_e32 v15, 0x3ff, v15
	s_branch .LBB34_19
.LBB34_17:                              ;   in Loop: Header=BB34_19 Depth=3
	s_or_b32 exec_lo, exec_lo, s28
	s_delay_alu instid0(SALU_CYCLE_1)
	s_and_not1_b32 s2, s23, exec_lo
	s_and_b32 s23, s26, exec_lo
	s_and_not1_b32 s22, s22, exec_lo
	s_and_b32 s24, s27, exec_lo
	s_or_b32 s23, s2, s23
	s_or_b32 s22, s22, s24
                                        ; implicit-def: $sgpr24
.LBB34_18:                              ;   in Loop: Header=BB34_19 Depth=3
	s_or_b32 exec_lo, exec_lo, s25
	s_xor_b32 s2, s22, -1
	s_delay_alu instid0(SALU_CYCLE_1) | instskip(NEXT) | instid1(SALU_CYCLE_1)
	s_and_b32 s2, exec_lo, s2
	s_or_b32 s21, s2, s21
	s_and_not1_b32 s2, s24, exec_lo
	s_and_b32 s25, s23, exec_lo
	s_and_not1_b32 s20, s20, exec_lo
	s_or_b32 s24, s2, s25
	s_or_b32 s20, s20, s25
	s_and_not1_b32 exec_lo, exec_lo, s21
	s_cbranch_execz .LBB34_15
.LBB34_19:                              ;   Parent Loop BB34_13 Depth=1
                                        ;     Parent Loop BB34_16 Depth=2
                                        ; =>    This Inner Loop Header: Depth=3
	s_delay_alu instid0(VALU_DEP_1)
	v_lshl_add_u32 v16, v15, 2, 0
	s_and_not1_b32 s23, s23, exec_lo
	s_and_not1_b32 s22, s22, exec_lo
	s_mov_b32 s25, exec_lo
	ds_load_b32 v17, v16
	s_waitcnt lgkmcnt(0)
	v_cmpx_ne_u32_e64 v17, v14
	s_cbranch_execz .LBB34_18
; %bb.20:                               ;   in Loop: Header=BB34_19 Depth=3
	s_mov_b32 s2, exec_lo
                                        ; implicit-def: $sgpr26
                                        ; implicit-def: $sgpr27
	v_cmpx_ne_u32_e32 -1, v17
	s_xor_b32 s2, exec_lo, s2
; %bb.21:                               ;   in Loop: Header=BB34_19 Depth=3
	v_add_nc_u32_e32 v15, 1, v15
	s_mov_b32 s27, -1
	s_and_b32 s26, s24, exec_lo
                                        ; implicit-def: $vgpr16
	s_delay_alu instid0(VALU_DEP_1)
	v_and_b32_e32 v15, 0x3ff, v15
; %bb.22:                               ;   in Loop: Header=BB34_19 Depth=3
	s_and_not1_saveexec_b32 s28, s2
	s_cbranch_execz .LBB34_17
; %bb.23:                               ;   in Loop: Header=BB34_19 Depth=3
	ds_cmpstore_rtn_b32 v16, v16, v14, v13
	s_and_not1_b32 s27, s27, exec_lo
	s_and_not1_b32 s26, s26, exec_lo
	s_waitcnt lgkmcnt(0)
	v_cmp_eq_u32_e32 vcc_lo, -1, v16
	v_cmp_ne_u32_e64 s2, -1, v16
	s_or_b32 s24, vcc_lo, s24
	s_delay_alu instid0(VALU_DEP_1)
	s_and_b32 s2, s2, exec_lo
	s_and_b32 s24, s24, exec_lo
	s_or_b32 s27, s27, s2
	s_or_b32 s26, s26, s24
	s_branch .LBB34_17
.LBB34_24:
	s_or_b32 exec_lo, exec_lo, s7
.LBB34_25:
	s_delay_alu instid0(SALU_CYCLE_1)
	s_or_b32 exec_lo, exec_lo, s3
.LBB34_26:
	s_load_b32 s2, s[0:1], 0x54
	s_waitcnt lgkmcnt(0)
	s_bfe_u32 s2, s2, 0x10008
	s_delay_alu instid0(SALU_CYCLE_1)
	s_cmp_eq_u32 s2, 0
	s_cbranch_scc1 .LBB34_40
; %bb.27:
	s_load_b64 s[2:3], s[0:1], 0x30
	s_ashr_i32 s13, s12, 31
	s_delay_alu instid0(SALU_CYCLE_1)
	s_lshl_b64 s[4:5], s[12:13], 3
	s_waitcnt lgkmcnt(0)
	s_add_u32 s2, s2, s4
	s_addc_u32 s3, s3, s5
	s_load_b128 s[8:11], s[2:3], 0x0
	v_sub_co_u32 v1, s2, v8, s6
	s_delay_alu instid0(VALU_DEP_1) | instskip(SKIP_2) | instid1(VALU_DEP_2)
	v_sub_co_ci_u32_e64 v2, null, 0, 0, s2
	s_mov_b32 s3, exec_lo
	s_waitcnt lgkmcnt(0)
	v_add_co_u32 v1, vcc_lo, v1, s8
	s_delay_alu instid0(VALU_DEP_2)
	v_add_co_ci_u32_e32 v2, vcc_lo, s9, v2, vcc_lo
	s_sub_u32 s4, s10, s6
	s_subb_u32 s5, s11, 0
	s_delay_alu instid0(VALU_DEP_1) | instid1(SALU_CYCLE_1)
	v_cmpx_gt_i64_e64 s[4:5], v[1:2]
	s_cbranch_execz .LBB34_39
; %bb.28:
	s_load_b64 s[8:9], s[0:1], 0x38
	v_mov_b32_e32 v3, -1
	s_mov_b32 s7, 0
	s_branch .LBB34_30
.LBB34_29:                              ;   in Loop: Header=BB34_30 Depth=1
	s_or_b32 exec_lo, exec_lo, s11
	v_add_co_u32 v1, vcc_lo, v1, 16
	v_add_co_ci_u32_e32 v2, vcc_lo, 0, v2, vcc_lo
	v_cndmask_b32_e64 v4, 0, 1, s10
	s_delay_alu instid0(VALU_DEP_2) | instskip(NEXT) | instid1(VALU_DEP_2)
	v_cmp_le_i64_e32 vcc_lo, s[4:5], v[1:2]
	v_add_nc_u32_e32 v10, v10, v4
	s_or_b32 s7, vcc_lo, s7
	s_delay_alu instid0(SALU_CYCLE_1)
	s_and_not1_b32 exec_lo, exec_lo, s7
	s_cbranch_execz .LBB34_38
.LBB34_30:                              ; =>This Loop Header: Depth=1
                                        ;     Child Loop BB34_33 Depth 2
	v_lshlrev_b64 v[4:5], 2, v[1:2]
	s_mov_b32 s11, 0
                                        ; implicit-def: $sgpr10
                                        ; implicit-def: $sgpr13
                                        ; implicit-def: $sgpr14
                                        ; implicit-def: $sgpr15
	s_waitcnt lgkmcnt(0)
	s_delay_alu instid0(VALU_DEP_1) | instskip(NEXT) | instid1(VALU_DEP_2)
	v_add_co_u32 v4, vcc_lo, s8, v4
	v_add_co_ci_u32_e32 v5, vcc_lo, s9, v5, vcc_lo
	global_load_b32 v4, v[4:5], off
	s_waitcnt vmcnt(0)
	v_subrev_nc_u32_e32 v4, s6, v4
	s_delay_alu instid0(VALU_DEP_1) | instskip(NEXT) | instid1(VALU_DEP_1)
	v_mul_lo_u32 v5, 0x4f, v4
	v_and_b32_e32 v5, 0x3ff, v5
	s_branch .LBB34_33
.LBB34_31:                              ;   in Loop: Header=BB34_33 Depth=2
	s_or_b32 exec_lo, exec_lo, s19
	s_delay_alu instid0(SALU_CYCLE_1)
	s_and_not1_b32 s2, s14, exec_lo
	s_and_b32 s14, s17, exec_lo
	s_and_not1_b32 s13, s13, exec_lo
	s_and_b32 s15, s18, exec_lo
	s_or_b32 s14, s2, s14
	s_or_b32 s13, s13, s15
                                        ; implicit-def: $sgpr15
.LBB34_32:                              ;   in Loop: Header=BB34_33 Depth=2
	s_or_b32 exec_lo, exec_lo, s16
	s_xor_b32 s2, s13, -1
	s_delay_alu instid0(SALU_CYCLE_1) | instskip(NEXT) | instid1(SALU_CYCLE_1)
	s_and_b32 s2, exec_lo, s2
	s_or_b32 s11, s2, s11
	s_and_not1_b32 s2, s15, exec_lo
	s_and_b32 s16, s14, exec_lo
	s_and_not1_b32 s10, s10, exec_lo
	s_or_b32 s15, s2, s16
	s_or_b32 s10, s10, s16
	s_and_not1_b32 exec_lo, exec_lo, s11
	s_cbranch_execz .LBB34_29
.LBB34_33:                              ;   Parent Loop BB34_30 Depth=1
                                        ; =>  This Inner Loop Header: Depth=2
	s_delay_alu instid0(VALU_DEP_1)
	v_lshl_add_u32 v6, v5, 2, 0
	s_and_not1_b32 s14, s14, exec_lo
	s_and_not1_b32 s13, s13, exec_lo
	s_mov_b32 s16, exec_lo
	ds_load_b32 v11, v6
	s_waitcnt lgkmcnt(0)
	v_cmpx_ne_u32_e64 v11, v4
	s_cbranch_execz .LBB34_32
; %bb.34:                               ;   in Loop: Header=BB34_33 Depth=2
	s_mov_b32 s2, exec_lo
                                        ; implicit-def: $sgpr17
                                        ; implicit-def: $sgpr18
	v_cmpx_ne_u32_e32 -1, v11
	s_xor_b32 s2, exec_lo, s2
; %bb.35:                               ;   in Loop: Header=BB34_33 Depth=2
	v_add_nc_u32_e32 v5, 1, v5
	s_mov_b32 s18, -1
	s_and_b32 s17, s15, exec_lo
                                        ; implicit-def: $vgpr6
	s_delay_alu instid0(VALU_DEP_1)
	v_and_b32_e32 v5, 0x3ff, v5
; %bb.36:                               ;   in Loop: Header=BB34_33 Depth=2
	s_and_not1_saveexec_b32 s19, s2
	s_cbranch_execz .LBB34_31
; %bb.37:                               ;   in Loop: Header=BB34_33 Depth=2
	ds_cmpstore_rtn_b32 v6, v6, v4, v3
	s_and_not1_b32 s18, s18, exec_lo
	s_and_not1_b32 s17, s17, exec_lo
	s_waitcnt lgkmcnt(0)
	v_cmp_eq_u32_e32 vcc_lo, -1, v6
	v_cmp_ne_u32_e64 s2, -1, v6
	s_or_b32 s15, vcc_lo, s15
	s_delay_alu instid0(VALU_DEP_1)
	s_and_b32 s2, s2, exec_lo
	s_and_b32 s15, s15, exec_lo
	s_or_b32 s18, s18, s2
	s_or_b32 s17, s17, s15
	s_branch .LBB34_31
.LBB34_38:
	s_or_b32 exec_lo, exec_lo, s7
.LBB34_39:
	s_delay_alu instid0(SALU_CYCLE_1)
	s_or_b32 exec_lo, exec_lo, s3
.LBB34_40:
	v_mbcnt_lo_u32_b32 v1, -1, 0
	s_mov_b32 s2, exec_lo
	s_barrier
	buffer_gl0_inv
	v_xor_b32_e32 v2, 4, v1
	v_xor_b32_e32 v3, 2, v1
	;; [unrolled: 1-line block ×3, first 2 shown]
	s_delay_alu instid0(VALU_DEP_3) | instskip(SKIP_1) | instid1(VALU_DEP_4)
	v_cmp_gt_i32_e32 vcc_lo, 32, v2
	v_cndmask_b32_e32 v2, v1, v2, vcc_lo
	v_cmp_gt_i32_e32 vcc_lo, 32, v3
	v_cndmask_b32_e32 v3, v1, v3, vcc_lo
	v_cmp_gt_i32_e32 vcc_lo, 32, v6
	s_delay_alu instid0(VALU_DEP_2)
	v_lshlrev_b32_e32 v3, 2, v3
	v_lshlrev_b32_e32 v2, 2, v2
	v_cndmask_b32_e32 v6, v1, v6, vcc_lo
	ds_bpermute_b32 v4, v2, v10
	s_waitcnt lgkmcnt(0)
	v_add_nc_u32_e32 v4, v4, v10
	ds_bpermute_b32 v5, v3, v4
	s_waitcnt lgkmcnt(0)
	v_add_nc_u32_e32 v5, v5, v4
	v_lshlrev_b32_e32 v4, 2, v6
	ds_bpermute_b32 v6, v4, v5
	v_cmpx_eq_u32_e32 7, v9
	s_cbranch_execz .LBB34_42
; %bb.41:
	v_lshl_add_u32 v8, v8, 2, 0
	s_waitcnt lgkmcnt(0)
	v_add_nc_u32_e32 v5, v6, v5
	ds_store_b32 v8, v5
.LBB34_42:
	s_or_b32 exec_lo, exec_lo, s2
	v_mov_b32_e32 v5, 0
	s_mov_b32 s2, exec_lo
	s_waitcnt lgkmcnt(0)
	s_barrier
	buffer_gl0_inv
	v_cmpx_gt_u32_e32 16, v0
	s_cbranch_execz .LBB34_44
; %bb.43:
	ds_load_b32 v5, v7
.LBB34_44:
	s_or_b32 exec_lo, exec_lo, s2
	v_xor_b32_e32 v6, 8, v1
	s_mov_b32 s2, exec_lo
	s_delay_alu instid0(VALU_DEP_1) | instskip(SKIP_1) | instid1(VALU_DEP_1)
	v_cmp_gt_i32_e32 vcc_lo, 32, v6
	v_cndmask_b32_e32 v1, v1, v6, vcc_lo
	v_lshlrev_b32_e32 v1, 2, v1
	s_waitcnt lgkmcnt(0)
	ds_bpermute_b32 v1, v1, v5
	s_waitcnt lgkmcnt(0)
	v_add_nc_u32_e32 v1, v1, v5
	ds_bpermute_b32 v2, v2, v1
	s_waitcnt lgkmcnt(0)
	v_add_nc_u32_e32 v1, v2, v1
	;; [unrolled: 3-line block ×3, first 2 shown]
	ds_bpermute_b32 v2, v4, v1
	v_cmpx_eq_u32_e32 15, v0
	s_cbranch_execz .LBB34_46
; %bb.45:
	s_load_b64 s[0:1], s[0:1], 0x40
	s_waitcnt lgkmcnt(0)
	v_add_nc_u32_e32 v0, v2, v1
	s_ashr_i32 s13, s12, 31
	v_mov_b32_e32 v2, 0
	s_lshl_b64 s[2:3], s[12:13], 3
	s_delay_alu instid0(VALU_DEP_2)
	v_ashrrev_i32_e32 v1, 31, v0
	s_add_u32 s0, s0, s2
	s_addc_u32 s1, s1, s3
	global_store_b64 v2, v[0:1], s[0:1]
.LBB34_46:
	s_nop 0
	s_sendmsg sendmsg(MSG_DEALLOC_VGPRS)
	s_endpgm
	.section	.rodata,"a",@progbits
	.p2align	6, 0x0
	.amdhsa_kernel _ZN9rocsparseL25csrgemm_nnz_block_per_rowILj128ELj8ELj1024ELj79EliEEvPKT4_S3_PKT3_S3_S6_S3_S6_S3_PS4_21rocsparse_index_base_S8_S8_bb
		.amdhsa_group_segment_fixed_size 0
		.amdhsa_private_segment_fixed_size 0
		.amdhsa_kernarg_size 88
		.amdhsa_user_sgpr_count 15
		.amdhsa_user_sgpr_dispatch_ptr 0
		.amdhsa_user_sgpr_queue_ptr 0
		.amdhsa_user_sgpr_kernarg_segment_ptr 1
		.amdhsa_user_sgpr_dispatch_id 0
		.amdhsa_user_sgpr_private_segment_size 0
		.amdhsa_wavefront_size32 1
		.amdhsa_uses_dynamic_stack 0
		.amdhsa_enable_private_segment 0
		.amdhsa_system_sgpr_workgroup_id_x 1
		.amdhsa_system_sgpr_workgroup_id_y 0
		.amdhsa_system_sgpr_workgroup_id_z 0
		.amdhsa_system_sgpr_workgroup_info 0
		.amdhsa_system_vgpr_workitem_id 0
		.amdhsa_next_free_vgpr 18
		.amdhsa_next_free_sgpr 29
		.amdhsa_reserve_vcc 1
		.amdhsa_float_round_mode_32 0
		.amdhsa_float_round_mode_16_64 0
		.amdhsa_float_denorm_mode_32 3
		.amdhsa_float_denorm_mode_16_64 3
		.amdhsa_dx10_clamp 1
		.amdhsa_ieee_mode 1
		.amdhsa_fp16_overflow 0
		.amdhsa_workgroup_processor_mode 1
		.amdhsa_memory_ordered 1
		.amdhsa_forward_progress 0
		.amdhsa_shared_vgpr_count 0
		.amdhsa_exception_fp_ieee_invalid_op 0
		.amdhsa_exception_fp_denorm_src 0
		.amdhsa_exception_fp_ieee_div_zero 0
		.amdhsa_exception_fp_ieee_overflow 0
		.amdhsa_exception_fp_ieee_underflow 0
		.amdhsa_exception_fp_ieee_inexact 0
		.amdhsa_exception_int_div_zero 0
	.end_amdhsa_kernel
	.section	.text._ZN9rocsparseL25csrgemm_nnz_block_per_rowILj128ELj8ELj1024ELj79EliEEvPKT4_S3_PKT3_S3_S6_S3_S6_S3_PS4_21rocsparse_index_base_S8_S8_bb,"axG",@progbits,_ZN9rocsparseL25csrgemm_nnz_block_per_rowILj128ELj8ELj1024ELj79EliEEvPKT4_S3_PKT3_S3_S6_S3_S6_S3_PS4_21rocsparse_index_base_S8_S8_bb,comdat
.Lfunc_end34:
	.size	_ZN9rocsparseL25csrgemm_nnz_block_per_rowILj128ELj8ELj1024ELj79EliEEvPKT4_S3_PKT3_S3_S6_S3_S6_S3_PS4_21rocsparse_index_base_S8_S8_bb, .Lfunc_end34-_ZN9rocsparseL25csrgemm_nnz_block_per_rowILj128ELj8ELj1024ELj79EliEEvPKT4_S3_PKT3_S3_S6_S3_S6_S3_PS4_21rocsparse_index_base_S8_S8_bb
                                        ; -- End function
	.section	.AMDGPU.csdata,"",@progbits
; Kernel info:
; codeLenInByte = 1944
; NumSgprs: 31
; NumVgprs: 18
; ScratchSize: 0
; MemoryBound: 0
; FloatMode: 240
; IeeeMode: 1
; LDSByteSize: 0 bytes/workgroup (compile time only)
; SGPRBlocks: 3
; VGPRBlocks: 2
; NumSGPRsForWavesPerEU: 31
; NumVGPRsForWavesPerEU: 18
; Occupancy: 16
; WaveLimiterHint : 1
; COMPUTE_PGM_RSRC2:SCRATCH_EN: 0
; COMPUTE_PGM_RSRC2:USER_SGPR: 15
; COMPUTE_PGM_RSRC2:TRAP_HANDLER: 0
; COMPUTE_PGM_RSRC2:TGID_X_EN: 1
; COMPUTE_PGM_RSRC2:TGID_Y_EN: 0
; COMPUTE_PGM_RSRC2:TGID_Z_EN: 0
; COMPUTE_PGM_RSRC2:TIDIG_COMP_CNT: 0
	.section	.text._ZN9rocsparseL25csrgemm_nnz_block_per_rowILj256ELj16ELj2048ELj79EliEEvPKT4_S3_PKT3_S3_S6_S3_S6_S3_PS4_21rocsparse_index_base_S8_S8_bb,"axG",@progbits,_ZN9rocsparseL25csrgemm_nnz_block_per_rowILj256ELj16ELj2048ELj79EliEEvPKT4_S3_PKT3_S3_S6_S3_S6_S3_PS4_21rocsparse_index_base_S8_S8_bb,comdat
	.globl	_ZN9rocsparseL25csrgemm_nnz_block_per_rowILj256ELj16ELj2048ELj79EliEEvPKT4_S3_PKT3_S3_S6_S3_S6_S3_PS4_21rocsparse_index_base_S8_S8_bb ; -- Begin function _ZN9rocsparseL25csrgemm_nnz_block_per_rowILj256ELj16ELj2048ELj79EliEEvPKT4_S3_PKT3_S3_S6_S3_S6_S3_PS4_21rocsparse_index_base_S8_S8_bb
	.p2align	8
	.type	_ZN9rocsparseL25csrgemm_nnz_block_per_rowILj256ELj16ELj2048ELj79EliEEvPKT4_S3_PKT3_S3_S6_S3_S6_S3_PS4_21rocsparse_index_base_S8_S8_bb,@function
_ZN9rocsparseL25csrgemm_nnz_block_per_rowILj256ELj16ELj2048ELj79EliEEvPKT4_S3_PKT3_S3_S6_S3_S6_S3_PS4_21rocsparse_index_base_S8_S8_bb: ; @_ZN9rocsparseL25csrgemm_nnz_block_per_rowILj256ELj16ELj2048ELj79EliEEvPKT4_S3_PKT3_S3_S6_S3_S6_S3_PS4_21rocsparse_index_base_S8_S8_bb
; %bb.0:
	s_load_b128 s[4:7], s[0:1], 0x0
	s_mov_b32 s3, 0
	v_or_b32_e32 v2, 0x400, v0
	v_lshl_add_u32 v7, v0, 2, 0
	v_mov_b32_e32 v1, -1
	s_waitcnt lgkmcnt(0)
	s_load_b32 s2, s[4:5], 0x0
	s_waitcnt lgkmcnt(0)
	s_add_i32 s2, s2, s15
	s_delay_alu instid0(SALU_CYCLE_1) | instskip(NEXT) | instid1(SALU_CYCLE_1)
	s_lshl_b64 s[2:3], s[2:3], 2
	s_add_u32 s2, s6, s2
	s_addc_u32 s3, s7, s3
	s_load_b32 s12, s[2:3], 0x0
	s_mov_b32 s2, exec_lo
	ds_store_2addr_stride64_b32 v7, v1, v1 offset1:4
	ds_store_2addr_stride64_b32 v7, v1, v1 offset0:8 offset1:12
	ds_store_b32 v7, v1 offset:4096
	v_cmpx_gt_u32_e32 0x700, v2
	s_cbranch_execz .LBB35_4
; %bb.1:
	ds_store_b32 v7, v1 offset:5120
	s_mov_b32 s3, exec_lo
	v_cmpx_gt_u32_e32 0x200, v0
	s_xor_b32 s3, exec_lo, s3
	s_cbranch_execz .LBB35_4
; %bb.2:
	v_mov_b32_e32 v1, -1
	s_mov_b32 s3, exec_lo
	ds_store_b32 v7, v1 offset:6144
	v_cmpx_gt_u32_e32 0x100, v0
	s_xor_b32 s3, exec_lo, s3
	s_cbranch_execz .LBB35_4
; %bb.3:
	ds_store_b32 v7, v1 offset:7168
.LBB35_4:
	s_or_b32 exec_lo, exec_lo, s2
	s_load_b128 s[4:7], s[0:1], 0x48
	v_dual_mov_b32 v10, 0 :: v_dual_and_b32 v9, 15, v0
	v_lshrrev_b32_e32 v8, 4, v0
	s_waitcnt lgkmcnt(0)
	s_barrier
	buffer_gl0_inv
	s_bitcmp1_b32 s7, 0
	s_cselect_b32 s2, -1, 0
	s_delay_alu instid0(SALU_CYCLE_1)
	s_and_b32 vcc_lo, exec_lo, s2
	s_cbranch_vccz .LBB35_22
; %bb.5:
	s_load_b64 s[2:3], s[0:1], 0x10
	s_ashr_i32 s13, s12, 31
	v_mov_b32_e32 v10, 0
	s_lshl_b64 s[8:9], s[12:13], 3
	s_mov_b32 s7, 0
	s_waitcnt lgkmcnt(0)
	s_add_u32 s2, s2, s8
	s_addc_u32 s3, s3, s9
	s_load_b128 s[8:11], s[2:3], 0x0
	v_sub_co_u32 v1, s2, v8, s4
	s_delay_alu instid0(VALU_DEP_1) | instskip(SKIP_2) | instid1(VALU_DEP_2)
	v_sub_co_ci_u32_e64 v2, null, 0, 0, s2
	s_mov_b32 s3, exec_lo
	s_waitcnt lgkmcnt(0)
	v_add_co_u32 v1, vcc_lo, v1, s8
	s_delay_alu instid0(VALU_DEP_2)
	v_add_co_ci_u32_e32 v2, vcc_lo, s9, v2, vcc_lo
	s_sub_u32 s14, s10, s4
	s_subb_u32 s15, s11, 0
	s_delay_alu instid0(VALU_DEP_1) | instid1(SALU_CYCLE_1)
	v_cmpx_gt_i64_e64 s[14:15], v[1:2]
	s_cbranch_execz .LBB35_21
; %bb.6:
	s_clause 0x1
	s_load_b128 s[8:11], s[0:1], 0x18
	s_load_b64 s[16:17], s[0:1], 0x28
	v_sub_co_u32 v11, s2, v9, s5
	v_dual_mov_b32 v10, 0 :: v_dual_mov_b32 v13, -1
	v_sub_co_ci_u32_e64 v12, null, 0, 0, s2
	s_mov_b32 s13, s5
	s_branch .LBB35_9
.LBB35_7:                               ;   in Loop: Header=BB35_9 Depth=1
	s_or_b32 exec_lo, exec_lo, s19
.LBB35_8:                               ;   in Loop: Header=BB35_9 Depth=1
	s_delay_alu instid0(SALU_CYCLE_1) | instskip(SKIP_2) | instid1(VALU_DEP_1)
	s_or_b32 exec_lo, exec_lo, s18
	v_add_co_u32 v1, vcc_lo, v1, 16
	v_add_co_ci_u32_e32 v2, vcc_lo, 0, v2, vcc_lo
	v_cmp_le_i64_e32 vcc_lo, s[14:15], v[1:2]
	s_or_b32 s7, vcc_lo, s7
	s_delay_alu instid0(SALU_CYCLE_1)
	s_and_not1_b32 exec_lo, exec_lo, s7
	s_cbranch_execz .LBB35_20
.LBB35_9:                               ; =>This Loop Header: Depth=1
                                        ;     Child Loop BB35_12 Depth 2
                                        ;       Child Loop BB35_15 Depth 3
	v_lshlrev_b64 v[3:4], 2, v[1:2]
	s_mov_b32 s18, exec_lo
	s_waitcnt lgkmcnt(0)
	s_delay_alu instid0(VALU_DEP_1) | instskip(NEXT) | instid1(VALU_DEP_2)
	v_add_co_u32 v3, vcc_lo, s8, v3
	v_add_co_ci_u32_e32 v4, vcc_lo, s9, v4, vcc_lo
	global_load_b32 v3, v[3:4], off
	s_waitcnt vmcnt(0)
	v_subrev_nc_u32_e32 v3, s4, v3
	s_delay_alu instid0(VALU_DEP_1) | instskip(NEXT) | instid1(VALU_DEP_1)
	v_ashrrev_i32_e32 v4, 31, v3
	v_lshlrev_b64 v[3:4], 3, v[3:4]
	s_delay_alu instid0(VALU_DEP_1) | instskip(NEXT) | instid1(VALU_DEP_2)
	v_add_co_u32 v3, vcc_lo, s10, v3
	v_add_co_ci_u32_e32 v4, vcc_lo, s11, v4, vcc_lo
	global_load_b128 v[14:17], v[3:4], off
	s_waitcnt vmcnt(0)
	v_sub_co_u32 v3, vcc_lo, v16, s13
	v_subrev_co_ci_u32_e32 v4, vcc_lo, 0, v17, vcc_lo
	v_add_co_u32 v5, vcc_lo, v11, v14
	v_add_co_ci_u32_e32 v6, vcc_lo, v12, v15, vcc_lo
	s_delay_alu instid0(VALU_DEP_1)
	v_cmpx_lt_i64_e64 v[5:6], v[3:4]
	s_cbranch_execz .LBB35_8
; %bb.10:                               ;   in Loop: Header=BB35_9 Depth=1
	s_mov_b32 s19, 0
	s_branch .LBB35_12
.LBB35_11:                              ;   in Loop: Header=BB35_12 Depth=2
	s_or_b32 exec_lo, exec_lo, s21
	v_add_co_u32 v5, vcc_lo, v5, 16
	v_add_co_ci_u32_e32 v6, vcc_lo, 0, v6, vcc_lo
	v_cndmask_b32_e64 v14, 0, 1, s20
	s_delay_alu instid0(VALU_DEP_2) | instskip(NEXT) | instid1(VALU_DEP_2)
	v_cmp_ge_i64_e32 vcc_lo, v[5:6], v[3:4]
	v_add_nc_u32_e32 v10, v10, v14
	s_or_b32 s19, vcc_lo, s19
	s_delay_alu instid0(SALU_CYCLE_1)
	s_and_not1_b32 exec_lo, exec_lo, s19
	s_cbranch_execz .LBB35_7
.LBB35_12:                              ;   Parent Loop BB35_9 Depth=1
                                        ; =>  This Loop Header: Depth=2
                                        ;       Child Loop BB35_15 Depth 3
	v_lshlrev_b64 v[14:15], 2, v[5:6]
	s_mov_b32 s21, 0
                                        ; implicit-def: $sgpr20
                                        ; implicit-def: $sgpr22
                                        ; implicit-def: $sgpr23
                                        ; implicit-def: $sgpr24
	s_delay_alu instid0(VALU_DEP_1) | instskip(NEXT) | instid1(VALU_DEP_2)
	v_add_co_u32 v14, vcc_lo, s16, v14
	v_add_co_ci_u32_e32 v15, vcc_lo, s17, v15, vcc_lo
	global_load_b32 v14, v[14:15], off
	s_waitcnt vmcnt(0)
	v_subrev_nc_u32_e32 v14, s5, v14
	s_delay_alu instid0(VALU_DEP_1) | instskip(NEXT) | instid1(VALU_DEP_1)
	v_mul_lo_u32 v15, 0x4f, v14
	v_and_b32_e32 v15, 0x7ff, v15
	s_branch .LBB35_15
.LBB35_13:                              ;   in Loop: Header=BB35_15 Depth=3
	s_or_b32 exec_lo, exec_lo, s28
	s_delay_alu instid0(SALU_CYCLE_1)
	s_and_not1_b32 s2, s23, exec_lo
	s_and_b32 s23, s26, exec_lo
	s_and_not1_b32 s22, s22, exec_lo
	s_and_b32 s24, s27, exec_lo
	s_or_b32 s23, s2, s23
	s_or_b32 s22, s22, s24
                                        ; implicit-def: $sgpr24
.LBB35_14:                              ;   in Loop: Header=BB35_15 Depth=3
	s_or_b32 exec_lo, exec_lo, s25
	s_xor_b32 s2, s22, -1
	s_delay_alu instid0(SALU_CYCLE_1) | instskip(NEXT) | instid1(SALU_CYCLE_1)
	s_and_b32 s2, exec_lo, s2
	s_or_b32 s21, s2, s21
	s_and_not1_b32 s2, s24, exec_lo
	s_and_b32 s25, s23, exec_lo
	s_and_not1_b32 s20, s20, exec_lo
	s_or_b32 s24, s2, s25
	s_or_b32 s20, s20, s25
	s_and_not1_b32 exec_lo, exec_lo, s21
	s_cbranch_execz .LBB35_11
.LBB35_15:                              ;   Parent Loop BB35_9 Depth=1
                                        ;     Parent Loop BB35_12 Depth=2
                                        ; =>    This Inner Loop Header: Depth=3
	s_delay_alu instid0(VALU_DEP_1)
	v_lshl_add_u32 v16, v15, 2, 0
	s_and_not1_b32 s23, s23, exec_lo
	s_and_not1_b32 s22, s22, exec_lo
	s_mov_b32 s25, exec_lo
	ds_load_b32 v17, v16
	s_waitcnt lgkmcnt(0)
	v_cmpx_ne_u32_e64 v17, v14
	s_cbranch_execz .LBB35_14
; %bb.16:                               ;   in Loop: Header=BB35_15 Depth=3
	s_mov_b32 s2, exec_lo
                                        ; implicit-def: $sgpr26
                                        ; implicit-def: $sgpr27
	v_cmpx_ne_u32_e32 -1, v17
	s_xor_b32 s2, exec_lo, s2
; %bb.17:                               ;   in Loop: Header=BB35_15 Depth=3
	v_add_nc_u32_e32 v15, 1, v15
	s_mov_b32 s27, -1
	s_and_b32 s26, s24, exec_lo
                                        ; implicit-def: $vgpr16
	s_delay_alu instid0(VALU_DEP_1)
	v_and_b32_e32 v15, 0x7ff, v15
; %bb.18:                               ;   in Loop: Header=BB35_15 Depth=3
	s_and_not1_saveexec_b32 s28, s2
	s_cbranch_execz .LBB35_13
; %bb.19:                               ;   in Loop: Header=BB35_15 Depth=3
	ds_cmpstore_rtn_b32 v16, v16, v14, v13
	s_and_not1_b32 s27, s27, exec_lo
	s_and_not1_b32 s26, s26, exec_lo
	s_waitcnt lgkmcnt(0)
	v_cmp_eq_u32_e32 vcc_lo, -1, v16
	v_cmp_ne_u32_e64 s2, -1, v16
	s_or_b32 s24, vcc_lo, s24
	s_delay_alu instid0(VALU_DEP_1)
	s_and_b32 s2, s2, exec_lo
	s_and_b32 s24, s24, exec_lo
	s_or_b32 s27, s27, s2
	s_or_b32 s26, s26, s24
	s_branch .LBB35_13
.LBB35_20:
	s_or_b32 exec_lo, exec_lo, s7
.LBB35_21:
	s_delay_alu instid0(SALU_CYCLE_1)
	s_or_b32 exec_lo, exec_lo, s3
.LBB35_22:
	s_load_b32 s2, s[0:1], 0x54
	s_waitcnt lgkmcnt(0)
	s_bfe_u32 s2, s2, 0x10008
	s_delay_alu instid0(SALU_CYCLE_1)
	s_cmp_eq_u32 s2, 0
	s_cbranch_scc1 .LBB35_36
; %bb.23:
	s_load_b64 s[2:3], s[0:1], 0x30
	s_ashr_i32 s13, s12, 31
	s_delay_alu instid0(SALU_CYCLE_1)
	s_lshl_b64 s[4:5], s[12:13], 3
	s_waitcnt lgkmcnt(0)
	s_add_u32 s2, s2, s4
	s_addc_u32 s3, s3, s5
	s_load_b128 s[8:11], s[2:3], 0x0
	v_sub_co_u32 v1, s2, v8, s6
	s_delay_alu instid0(VALU_DEP_1) | instskip(SKIP_2) | instid1(VALU_DEP_2)
	v_sub_co_ci_u32_e64 v2, null, 0, 0, s2
	s_mov_b32 s3, exec_lo
	s_waitcnt lgkmcnt(0)
	v_add_co_u32 v1, vcc_lo, v1, s8
	s_delay_alu instid0(VALU_DEP_2)
	v_add_co_ci_u32_e32 v2, vcc_lo, s9, v2, vcc_lo
	s_sub_u32 s4, s10, s6
	s_subb_u32 s5, s11, 0
	s_delay_alu instid0(VALU_DEP_1) | instid1(SALU_CYCLE_1)
	v_cmpx_gt_i64_e64 s[4:5], v[1:2]
	s_cbranch_execz .LBB35_35
; %bb.24:
	s_load_b64 s[8:9], s[0:1], 0x38
	v_mov_b32_e32 v3, -1
	s_mov_b32 s7, 0
	s_branch .LBB35_26
.LBB35_25:                              ;   in Loop: Header=BB35_26 Depth=1
	s_or_b32 exec_lo, exec_lo, s11
	v_add_co_u32 v1, vcc_lo, v1, 16
	v_add_co_ci_u32_e32 v2, vcc_lo, 0, v2, vcc_lo
	v_cndmask_b32_e64 v4, 0, 1, s10
	s_delay_alu instid0(VALU_DEP_2) | instskip(NEXT) | instid1(VALU_DEP_2)
	v_cmp_le_i64_e32 vcc_lo, s[4:5], v[1:2]
	v_add_nc_u32_e32 v10, v10, v4
	s_or_b32 s7, vcc_lo, s7
	s_delay_alu instid0(SALU_CYCLE_1)
	s_and_not1_b32 exec_lo, exec_lo, s7
	s_cbranch_execz .LBB35_34
.LBB35_26:                              ; =>This Loop Header: Depth=1
                                        ;     Child Loop BB35_29 Depth 2
	v_lshlrev_b64 v[4:5], 2, v[1:2]
	s_mov_b32 s11, 0
                                        ; implicit-def: $sgpr10
                                        ; implicit-def: $sgpr13
                                        ; implicit-def: $sgpr14
                                        ; implicit-def: $sgpr15
	s_waitcnt lgkmcnt(0)
	s_delay_alu instid0(VALU_DEP_1) | instskip(NEXT) | instid1(VALU_DEP_2)
	v_add_co_u32 v4, vcc_lo, s8, v4
	v_add_co_ci_u32_e32 v5, vcc_lo, s9, v5, vcc_lo
	global_load_b32 v4, v[4:5], off
	s_waitcnt vmcnt(0)
	v_subrev_nc_u32_e32 v4, s6, v4
	s_delay_alu instid0(VALU_DEP_1) | instskip(NEXT) | instid1(VALU_DEP_1)
	v_mul_lo_u32 v5, 0x4f, v4
	v_and_b32_e32 v5, 0x7ff, v5
	s_branch .LBB35_29
.LBB35_27:                              ;   in Loop: Header=BB35_29 Depth=2
	s_or_b32 exec_lo, exec_lo, s19
	s_delay_alu instid0(SALU_CYCLE_1)
	s_and_not1_b32 s2, s14, exec_lo
	s_and_b32 s14, s17, exec_lo
	s_and_not1_b32 s13, s13, exec_lo
	s_and_b32 s15, s18, exec_lo
	s_or_b32 s14, s2, s14
	s_or_b32 s13, s13, s15
                                        ; implicit-def: $sgpr15
.LBB35_28:                              ;   in Loop: Header=BB35_29 Depth=2
	s_or_b32 exec_lo, exec_lo, s16
	s_xor_b32 s2, s13, -1
	s_delay_alu instid0(SALU_CYCLE_1) | instskip(NEXT) | instid1(SALU_CYCLE_1)
	s_and_b32 s2, exec_lo, s2
	s_or_b32 s11, s2, s11
	s_and_not1_b32 s2, s15, exec_lo
	s_and_b32 s16, s14, exec_lo
	s_and_not1_b32 s10, s10, exec_lo
	s_or_b32 s15, s2, s16
	s_or_b32 s10, s10, s16
	s_and_not1_b32 exec_lo, exec_lo, s11
	s_cbranch_execz .LBB35_25
.LBB35_29:                              ;   Parent Loop BB35_26 Depth=1
                                        ; =>  This Inner Loop Header: Depth=2
	s_delay_alu instid0(VALU_DEP_1)
	v_lshl_add_u32 v6, v5, 2, 0
	s_and_not1_b32 s14, s14, exec_lo
	s_and_not1_b32 s13, s13, exec_lo
	s_mov_b32 s16, exec_lo
	ds_load_b32 v11, v6
	s_waitcnt lgkmcnt(0)
	v_cmpx_ne_u32_e64 v11, v4
	s_cbranch_execz .LBB35_28
; %bb.30:                               ;   in Loop: Header=BB35_29 Depth=2
	s_mov_b32 s2, exec_lo
                                        ; implicit-def: $sgpr17
                                        ; implicit-def: $sgpr18
	v_cmpx_ne_u32_e32 -1, v11
	s_xor_b32 s2, exec_lo, s2
; %bb.31:                               ;   in Loop: Header=BB35_29 Depth=2
	v_add_nc_u32_e32 v5, 1, v5
	s_mov_b32 s18, -1
	s_and_b32 s17, s15, exec_lo
                                        ; implicit-def: $vgpr6
	s_delay_alu instid0(VALU_DEP_1)
	v_and_b32_e32 v5, 0x7ff, v5
; %bb.32:                               ;   in Loop: Header=BB35_29 Depth=2
	s_and_not1_saveexec_b32 s19, s2
	s_cbranch_execz .LBB35_27
; %bb.33:                               ;   in Loop: Header=BB35_29 Depth=2
	ds_cmpstore_rtn_b32 v6, v6, v4, v3
	s_and_not1_b32 s18, s18, exec_lo
	s_and_not1_b32 s17, s17, exec_lo
	s_waitcnt lgkmcnt(0)
	v_cmp_eq_u32_e32 vcc_lo, -1, v6
	v_cmp_ne_u32_e64 s2, -1, v6
	s_or_b32 s15, vcc_lo, s15
	s_delay_alu instid0(VALU_DEP_1)
	s_and_b32 s2, s2, exec_lo
	s_and_b32 s15, s15, exec_lo
	s_or_b32 s18, s18, s2
	s_or_b32 s17, s17, s15
	s_branch .LBB35_27
.LBB35_34:
	s_or_b32 exec_lo, exec_lo, s7
.LBB35_35:
	s_delay_alu instid0(SALU_CYCLE_1)
	s_or_b32 exec_lo, exec_lo, s3
.LBB35_36:
	v_mbcnt_lo_u32_b32 v4, -1, 0
	s_mov_b32 s2, exec_lo
	s_barrier
	buffer_gl0_inv
	v_xor_b32_e32 v1, 8, v4
	v_xor_b32_e32 v2, 4, v4
	s_delay_alu instid0(VALU_DEP_2) | instskip(SKIP_1) | instid1(VALU_DEP_3)
	v_cmp_gt_i32_e32 vcc_lo, 32, v1
	v_cndmask_b32_e32 v1, v4, v1, vcc_lo
	v_cmp_gt_i32_e32 vcc_lo, 32, v2
	v_cndmask_b32_e32 v2, v4, v2, vcc_lo
	s_delay_alu instid0(VALU_DEP_1) | instskip(NEXT) | instid1(VALU_DEP_4)
	v_lshlrev_b32_e32 v2, 2, v2
	v_lshlrev_b32_e32 v1, 2, v1
	ds_bpermute_b32 v3, v1, v10
	s_waitcnt lgkmcnt(0)
	v_add_nc_u32_e32 v5, v3, v10
	v_xor_b32_e32 v3, 2, v4
	v_xor_b32_e32 v10, 1, v4
	ds_bpermute_b32 v6, v2, v5
	v_cmp_gt_i32_e32 vcc_lo, 32, v3
	v_cndmask_b32_e32 v3, v4, v3, vcc_lo
	v_cmp_gt_i32_e32 vcc_lo, 32, v10
	v_cndmask_b32_e32 v4, v4, v10, vcc_lo
	s_delay_alu instid0(VALU_DEP_1) | instskip(NEXT) | instid1(VALU_DEP_4)
	v_lshlrev_b32_e32 v4, 2, v4
	v_lshlrev_b32_e32 v3, 2, v3
	s_waitcnt lgkmcnt(0)
	v_add_nc_u32_e32 v5, v6, v5
	ds_bpermute_b32 v6, v3, v5
	s_waitcnt lgkmcnt(0)
	v_add_nc_u32_e32 v5, v6, v5
	ds_bpermute_b32 v6, v4, v5
	v_cmpx_eq_u32_e32 15, v9
	s_cbranch_execz .LBB35_38
; %bb.37:
	v_lshl_add_u32 v8, v8, 2, 0
	s_waitcnt lgkmcnt(0)
	v_add_nc_u32_e32 v5, v6, v5
	ds_store_b32 v8, v5
.LBB35_38:
	s_or_b32 exec_lo, exec_lo, s2
	v_mov_b32_e32 v5, 0
	s_mov_b32 s2, exec_lo
	s_waitcnt lgkmcnt(0)
	s_barrier
	buffer_gl0_inv
	v_cmpx_gt_u32_e32 16, v0
	s_cbranch_execz .LBB35_40
; %bb.39:
	ds_load_b32 v5, v7
.LBB35_40:
	s_or_b32 exec_lo, exec_lo, s2
	s_waitcnt lgkmcnt(0)
	ds_bpermute_b32 v1, v1, v5
	s_mov_b32 s2, exec_lo
	s_waitcnt lgkmcnt(0)
	v_add_nc_u32_e32 v1, v1, v5
	ds_bpermute_b32 v2, v2, v1
	s_waitcnt lgkmcnt(0)
	v_add_nc_u32_e32 v1, v2, v1
	ds_bpermute_b32 v2, v3, v1
	;; [unrolled: 3-line block ×3, first 2 shown]
	v_cmpx_eq_u32_e32 15, v0
	s_cbranch_execz .LBB35_42
; %bb.41:
	s_load_b64 s[0:1], s[0:1], 0x40
	s_waitcnt lgkmcnt(0)
	v_add_nc_u32_e32 v0, v2, v1
	s_ashr_i32 s13, s12, 31
	v_mov_b32_e32 v2, 0
	s_lshl_b64 s[2:3], s[12:13], 3
	s_delay_alu instid0(VALU_DEP_2)
	v_ashrrev_i32_e32 v1, 31, v0
	s_add_u32 s0, s0, s2
	s_addc_u32 s1, s1, s3
	global_store_b64 v2, v[0:1], s[0:1]
.LBB35_42:
	s_nop 0
	s_sendmsg sendmsg(MSG_DEALLOC_VGPRS)
	s_endpgm
	.section	.rodata,"a",@progbits
	.p2align	6, 0x0
	.amdhsa_kernel _ZN9rocsparseL25csrgemm_nnz_block_per_rowILj256ELj16ELj2048ELj79EliEEvPKT4_S3_PKT3_S3_S6_S3_S6_S3_PS4_21rocsparse_index_base_S8_S8_bb
		.amdhsa_group_segment_fixed_size 0
		.amdhsa_private_segment_fixed_size 0
		.amdhsa_kernarg_size 88
		.amdhsa_user_sgpr_count 15
		.amdhsa_user_sgpr_dispatch_ptr 0
		.amdhsa_user_sgpr_queue_ptr 0
		.amdhsa_user_sgpr_kernarg_segment_ptr 1
		.amdhsa_user_sgpr_dispatch_id 0
		.amdhsa_user_sgpr_private_segment_size 0
		.amdhsa_wavefront_size32 1
		.amdhsa_uses_dynamic_stack 0
		.amdhsa_enable_private_segment 0
		.amdhsa_system_sgpr_workgroup_id_x 1
		.amdhsa_system_sgpr_workgroup_id_y 0
		.amdhsa_system_sgpr_workgroup_id_z 0
		.amdhsa_system_sgpr_workgroup_info 0
		.amdhsa_system_vgpr_workitem_id 0
		.amdhsa_next_free_vgpr 18
		.amdhsa_next_free_sgpr 29
		.amdhsa_reserve_vcc 1
		.amdhsa_float_round_mode_32 0
		.amdhsa_float_round_mode_16_64 0
		.amdhsa_float_denorm_mode_32 3
		.amdhsa_float_denorm_mode_16_64 3
		.amdhsa_dx10_clamp 1
		.amdhsa_ieee_mode 1
		.amdhsa_fp16_overflow 0
		.amdhsa_workgroup_processor_mode 1
		.amdhsa_memory_ordered 1
		.amdhsa_forward_progress 0
		.amdhsa_shared_vgpr_count 0
		.amdhsa_exception_fp_ieee_invalid_op 0
		.amdhsa_exception_fp_denorm_src 0
		.amdhsa_exception_fp_ieee_div_zero 0
		.amdhsa_exception_fp_ieee_overflow 0
		.amdhsa_exception_fp_ieee_underflow 0
		.amdhsa_exception_fp_ieee_inexact 0
		.amdhsa_exception_int_div_zero 0
	.end_amdhsa_kernel
	.section	.text._ZN9rocsparseL25csrgemm_nnz_block_per_rowILj256ELj16ELj2048ELj79EliEEvPKT4_S3_PKT3_S3_S6_S3_S6_S3_PS4_21rocsparse_index_base_S8_S8_bb,"axG",@progbits,_ZN9rocsparseL25csrgemm_nnz_block_per_rowILj256ELj16ELj2048ELj79EliEEvPKT4_S3_PKT3_S3_S6_S3_S6_S3_PS4_21rocsparse_index_base_S8_S8_bb,comdat
.Lfunc_end35:
	.size	_ZN9rocsparseL25csrgemm_nnz_block_per_rowILj256ELj16ELj2048ELj79EliEEvPKT4_S3_PKT3_S3_S6_S3_S6_S3_PS4_21rocsparse_index_base_S8_S8_bb, .Lfunc_end35-_ZN9rocsparseL25csrgemm_nnz_block_per_rowILj256ELj16ELj2048ELj79EliEEvPKT4_S3_PKT3_S3_S6_S3_S6_S3_PS4_21rocsparse_index_base_S8_S8_bb
                                        ; -- End function
	.section	.AMDGPU.csdata,"",@progbits
; Kernel info:
; codeLenInByte = 1864
; NumSgprs: 31
; NumVgprs: 18
; ScratchSize: 0
; MemoryBound: 0
; FloatMode: 240
; IeeeMode: 1
; LDSByteSize: 0 bytes/workgroup (compile time only)
; SGPRBlocks: 3
; VGPRBlocks: 2
; NumSGPRsForWavesPerEU: 31
; NumVGPRsForWavesPerEU: 18
; Occupancy: 16
; WaveLimiterHint : 1
; COMPUTE_PGM_RSRC2:SCRATCH_EN: 0
; COMPUTE_PGM_RSRC2:USER_SGPR: 15
; COMPUTE_PGM_RSRC2:TRAP_HANDLER: 0
; COMPUTE_PGM_RSRC2:TGID_X_EN: 1
; COMPUTE_PGM_RSRC2:TGID_Y_EN: 0
; COMPUTE_PGM_RSRC2:TGID_Z_EN: 0
; COMPUTE_PGM_RSRC2:TIDIG_COMP_CNT: 0
	.section	.text._ZN9rocsparseL25csrgemm_nnz_block_per_rowILj512ELj16ELj4096ELj79EliEEvPKT4_S3_PKT3_S3_S6_S3_S6_S3_PS4_21rocsparse_index_base_S8_S8_bb,"axG",@progbits,_ZN9rocsparseL25csrgemm_nnz_block_per_rowILj512ELj16ELj4096ELj79EliEEvPKT4_S3_PKT3_S3_S6_S3_S6_S3_PS4_21rocsparse_index_base_S8_S8_bb,comdat
	.globl	_ZN9rocsparseL25csrgemm_nnz_block_per_rowILj512ELj16ELj4096ELj79EliEEvPKT4_S3_PKT3_S3_S6_S3_S6_S3_PS4_21rocsparse_index_base_S8_S8_bb ; -- Begin function _ZN9rocsparseL25csrgemm_nnz_block_per_rowILj512ELj16ELj4096ELj79EliEEvPKT4_S3_PKT3_S3_S6_S3_S6_S3_PS4_21rocsparse_index_base_S8_S8_bb
	.p2align	8
	.type	_ZN9rocsparseL25csrgemm_nnz_block_per_rowILj512ELj16ELj4096ELj79EliEEvPKT4_S3_PKT3_S3_S6_S3_S6_S3_PS4_21rocsparse_index_base_S8_S8_bb,@function
_ZN9rocsparseL25csrgemm_nnz_block_per_rowILj512ELj16ELj4096ELj79EliEEvPKT4_S3_PKT3_S3_S6_S3_S6_S3_PS4_21rocsparse_index_base_S8_S8_bb: ; @_ZN9rocsparseL25csrgemm_nnz_block_per_rowILj512ELj16ELj4096ELj79EliEEvPKT4_S3_PKT3_S3_S6_S3_S6_S3_PS4_21rocsparse_index_base_S8_S8_bb
; %bb.0:
	s_load_b128 s[4:7], s[0:1], 0x0
	s_mov_b32 s3, 0
	v_lshl_add_u32 v7, v0, 2, 0
	v_or_b32_e32 v2, 0xc00, v0
	v_mov_b32_e32 v1, -1
	s_waitcnt lgkmcnt(0)
	s_load_b32 s2, s[4:5], 0x0
	s_waitcnt lgkmcnt(0)
	s_add_i32 s2, s2, s15
	s_delay_alu instid0(SALU_CYCLE_1) | instskip(NEXT) | instid1(SALU_CYCLE_1)
	s_lshl_b64 s[2:3], s[2:3], 2
	s_add_u32 s2, s6, s2
	s_addc_u32 s3, s7, s3
	s_load_b32 s12, s[2:3], 0x0
	s_mov_b32 s2, exec_lo
	ds_store_2addr_stride64_b32 v7, v1, v1 offset1:8
	ds_store_2addr_stride64_b32 v7, v1, v1 offset0:16 offset1:24
	ds_store_2addr_stride64_b32 v7, v1, v1 offset0:32 offset1:40
	ds_store_b32 v7, v1 offset:12288
	v_cmpx_gt_u32_e32 0xe00, v2
	s_cbranch_execz .LBB36_2
; %bb.1:
	ds_store_b32 v7, v1 offset:14336
.LBB36_2:
	s_or_b32 exec_lo, exec_lo, s2
	s_load_b128 s[4:7], s[0:1], 0x48
	v_dual_mov_b32 v10, 0 :: v_dual_and_b32 v9, 15, v0
	v_lshrrev_b32_e32 v8, 4, v0
	s_waitcnt lgkmcnt(0)
	s_barrier
	buffer_gl0_inv
	s_bitcmp1_b32 s7, 0
	s_cselect_b32 s2, -1, 0
	s_delay_alu instid0(SALU_CYCLE_1)
	s_and_b32 vcc_lo, exec_lo, s2
	s_cbranch_vccz .LBB36_20
; %bb.3:
	s_load_b64 s[2:3], s[0:1], 0x10
	s_ashr_i32 s13, s12, 31
	v_mov_b32_e32 v10, 0
	s_lshl_b64 s[8:9], s[12:13], 3
	s_mov_b32 s7, 0
	s_waitcnt lgkmcnt(0)
	s_add_u32 s2, s2, s8
	s_addc_u32 s3, s3, s9
	s_load_b128 s[8:11], s[2:3], 0x0
	v_sub_co_u32 v1, s2, v8, s4
	s_delay_alu instid0(VALU_DEP_1) | instskip(SKIP_2) | instid1(VALU_DEP_2)
	v_sub_co_ci_u32_e64 v2, null, 0, 0, s2
	s_mov_b32 s3, exec_lo
	s_waitcnt lgkmcnt(0)
	v_add_co_u32 v1, vcc_lo, v1, s8
	s_delay_alu instid0(VALU_DEP_2)
	v_add_co_ci_u32_e32 v2, vcc_lo, s9, v2, vcc_lo
	s_sub_u32 s14, s10, s4
	s_subb_u32 s15, s11, 0
	s_delay_alu instid0(VALU_DEP_1) | instid1(SALU_CYCLE_1)
	v_cmpx_gt_i64_e64 s[14:15], v[1:2]
	s_cbranch_execz .LBB36_19
; %bb.4:
	s_clause 0x1
	s_load_b128 s[8:11], s[0:1], 0x18
	s_load_b64 s[16:17], s[0:1], 0x28
	v_sub_co_u32 v11, s2, v9, s5
	v_dual_mov_b32 v10, 0 :: v_dual_mov_b32 v13, -1
	v_sub_co_ci_u32_e64 v12, null, 0, 0, s2
	s_mov_b32 s13, s5
	s_branch .LBB36_7
.LBB36_5:                               ;   in Loop: Header=BB36_7 Depth=1
	s_or_b32 exec_lo, exec_lo, s19
.LBB36_6:                               ;   in Loop: Header=BB36_7 Depth=1
	s_delay_alu instid0(SALU_CYCLE_1) | instskip(SKIP_2) | instid1(VALU_DEP_1)
	s_or_b32 exec_lo, exec_lo, s18
	v_add_co_u32 v1, vcc_lo, v1, 32
	v_add_co_ci_u32_e32 v2, vcc_lo, 0, v2, vcc_lo
	v_cmp_le_i64_e32 vcc_lo, s[14:15], v[1:2]
	s_or_b32 s7, vcc_lo, s7
	s_delay_alu instid0(SALU_CYCLE_1)
	s_and_not1_b32 exec_lo, exec_lo, s7
	s_cbranch_execz .LBB36_18
.LBB36_7:                               ; =>This Loop Header: Depth=1
                                        ;     Child Loop BB36_10 Depth 2
                                        ;       Child Loop BB36_13 Depth 3
	v_lshlrev_b64 v[3:4], 2, v[1:2]
	s_mov_b32 s18, exec_lo
	s_waitcnt lgkmcnt(0)
	s_delay_alu instid0(VALU_DEP_1) | instskip(NEXT) | instid1(VALU_DEP_2)
	v_add_co_u32 v3, vcc_lo, s8, v3
	v_add_co_ci_u32_e32 v4, vcc_lo, s9, v4, vcc_lo
	global_load_b32 v3, v[3:4], off
	s_waitcnt vmcnt(0)
	v_subrev_nc_u32_e32 v3, s4, v3
	s_delay_alu instid0(VALU_DEP_1) | instskip(NEXT) | instid1(VALU_DEP_1)
	v_ashrrev_i32_e32 v4, 31, v3
	v_lshlrev_b64 v[3:4], 3, v[3:4]
	s_delay_alu instid0(VALU_DEP_1) | instskip(NEXT) | instid1(VALU_DEP_2)
	v_add_co_u32 v3, vcc_lo, s10, v3
	v_add_co_ci_u32_e32 v4, vcc_lo, s11, v4, vcc_lo
	global_load_b128 v[14:17], v[3:4], off
	s_waitcnt vmcnt(0)
	v_sub_co_u32 v3, vcc_lo, v16, s13
	v_subrev_co_ci_u32_e32 v4, vcc_lo, 0, v17, vcc_lo
	v_add_co_u32 v5, vcc_lo, v11, v14
	v_add_co_ci_u32_e32 v6, vcc_lo, v12, v15, vcc_lo
	s_delay_alu instid0(VALU_DEP_1)
	v_cmpx_lt_i64_e64 v[5:6], v[3:4]
	s_cbranch_execz .LBB36_6
; %bb.8:                                ;   in Loop: Header=BB36_7 Depth=1
	s_mov_b32 s19, 0
	s_branch .LBB36_10
.LBB36_9:                               ;   in Loop: Header=BB36_10 Depth=2
	s_or_b32 exec_lo, exec_lo, s21
	v_add_co_u32 v5, vcc_lo, v5, 16
	v_add_co_ci_u32_e32 v6, vcc_lo, 0, v6, vcc_lo
	v_cndmask_b32_e64 v14, 0, 1, s20
	s_delay_alu instid0(VALU_DEP_2) | instskip(NEXT) | instid1(VALU_DEP_2)
	v_cmp_ge_i64_e32 vcc_lo, v[5:6], v[3:4]
	v_add_nc_u32_e32 v10, v10, v14
	s_or_b32 s19, vcc_lo, s19
	s_delay_alu instid0(SALU_CYCLE_1)
	s_and_not1_b32 exec_lo, exec_lo, s19
	s_cbranch_execz .LBB36_5
.LBB36_10:                              ;   Parent Loop BB36_7 Depth=1
                                        ; =>  This Loop Header: Depth=2
                                        ;       Child Loop BB36_13 Depth 3
	v_lshlrev_b64 v[14:15], 2, v[5:6]
	s_mov_b32 s21, 0
                                        ; implicit-def: $sgpr20
                                        ; implicit-def: $sgpr22
                                        ; implicit-def: $sgpr23
                                        ; implicit-def: $sgpr24
	s_delay_alu instid0(VALU_DEP_1) | instskip(NEXT) | instid1(VALU_DEP_2)
	v_add_co_u32 v14, vcc_lo, s16, v14
	v_add_co_ci_u32_e32 v15, vcc_lo, s17, v15, vcc_lo
	global_load_b32 v14, v[14:15], off
	s_waitcnt vmcnt(0)
	v_subrev_nc_u32_e32 v14, s5, v14
	s_delay_alu instid0(VALU_DEP_1) | instskip(NEXT) | instid1(VALU_DEP_1)
	v_mul_lo_u32 v15, 0x4f, v14
	v_and_b32_e32 v15, 0xfff, v15
	s_branch .LBB36_13
.LBB36_11:                              ;   in Loop: Header=BB36_13 Depth=3
	s_or_b32 exec_lo, exec_lo, s28
	s_delay_alu instid0(SALU_CYCLE_1)
	s_and_not1_b32 s2, s23, exec_lo
	s_and_b32 s23, s26, exec_lo
	s_and_not1_b32 s22, s22, exec_lo
	s_and_b32 s24, s27, exec_lo
	s_or_b32 s23, s2, s23
	s_or_b32 s22, s22, s24
                                        ; implicit-def: $sgpr24
.LBB36_12:                              ;   in Loop: Header=BB36_13 Depth=3
	s_or_b32 exec_lo, exec_lo, s25
	s_xor_b32 s2, s22, -1
	s_delay_alu instid0(SALU_CYCLE_1) | instskip(NEXT) | instid1(SALU_CYCLE_1)
	s_and_b32 s2, exec_lo, s2
	s_or_b32 s21, s2, s21
	s_and_not1_b32 s2, s24, exec_lo
	s_and_b32 s25, s23, exec_lo
	s_and_not1_b32 s20, s20, exec_lo
	s_or_b32 s24, s2, s25
	s_or_b32 s20, s20, s25
	s_and_not1_b32 exec_lo, exec_lo, s21
	s_cbranch_execz .LBB36_9
.LBB36_13:                              ;   Parent Loop BB36_7 Depth=1
                                        ;     Parent Loop BB36_10 Depth=2
                                        ; =>    This Inner Loop Header: Depth=3
	s_delay_alu instid0(VALU_DEP_1)
	v_lshl_add_u32 v16, v15, 2, 0
	s_and_not1_b32 s23, s23, exec_lo
	s_and_not1_b32 s22, s22, exec_lo
	s_mov_b32 s25, exec_lo
	ds_load_b32 v17, v16
	s_waitcnt lgkmcnt(0)
	v_cmpx_ne_u32_e64 v17, v14
	s_cbranch_execz .LBB36_12
; %bb.14:                               ;   in Loop: Header=BB36_13 Depth=3
	s_mov_b32 s2, exec_lo
                                        ; implicit-def: $sgpr26
                                        ; implicit-def: $sgpr27
	v_cmpx_ne_u32_e32 -1, v17
	s_xor_b32 s2, exec_lo, s2
; %bb.15:                               ;   in Loop: Header=BB36_13 Depth=3
	v_add_nc_u32_e32 v15, 1, v15
	s_mov_b32 s27, -1
	s_and_b32 s26, s24, exec_lo
                                        ; implicit-def: $vgpr16
	s_delay_alu instid0(VALU_DEP_1)
	v_and_b32_e32 v15, 0xfff, v15
; %bb.16:                               ;   in Loop: Header=BB36_13 Depth=3
	s_and_not1_saveexec_b32 s28, s2
	s_cbranch_execz .LBB36_11
; %bb.17:                               ;   in Loop: Header=BB36_13 Depth=3
	ds_cmpstore_rtn_b32 v16, v16, v14, v13
	s_and_not1_b32 s27, s27, exec_lo
	s_and_not1_b32 s26, s26, exec_lo
	s_waitcnt lgkmcnt(0)
	v_cmp_eq_u32_e32 vcc_lo, -1, v16
	v_cmp_ne_u32_e64 s2, -1, v16
	s_or_b32 s24, vcc_lo, s24
	s_delay_alu instid0(VALU_DEP_1)
	s_and_b32 s2, s2, exec_lo
	s_and_b32 s24, s24, exec_lo
	s_or_b32 s27, s27, s2
	s_or_b32 s26, s26, s24
	s_branch .LBB36_11
.LBB36_18:
	s_or_b32 exec_lo, exec_lo, s7
.LBB36_19:
	s_delay_alu instid0(SALU_CYCLE_1)
	s_or_b32 exec_lo, exec_lo, s3
.LBB36_20:
	s_load_b32 s2, s[0:1], 0x54
	s_waitcnt lgkmcnt(0)
	s_bfe_u32 s2, s2, 0x10008
	s_delay_alu instid0(SALU_CYCLE_1)
	s_cmp_eq_u32 s2, 0
	s_cbranch_scc1 .LBB36_34
; %bb.21:
	s_load_b64 s[2:3], s[0:1], 0x30
	s_ashr_i32 s13, s12, 31
	s_delay_alu instid0(SALU_CYCLE_1)
	s_lshl_b64 s[4:5], s[12:13], 3
	s_waitcnt lgkmcnt(0)
	s_add_u32 s2, s2, s4
	s_addc_u32 s3, s3, s5
	s_load_b128 s[8:11], s[2:3], 0x0
	v_sub_co_u32 v1, s2, v8, s6
	s_delay_alu instid0(VALU_DEP_1) | instskip(SKIP_2) | instid1(VALU_DEP_2)
	v_sub_co_ci_u32_e64 v2, null, 0, 0, s2
	s_mov_b32 s3, exec_lo
	s_waitcnt lgkmcnt(0)
	v_add_co_u32 v1, vcc_lo, v1, s8
	s_delay_alu instid0(VALU_DEP_2)
	v_add_co_ci_u32_e32 v2, vcc_lo, s9, v2, vcc_lo
	s_sub_u32 s4, s10, s6
	s_subb_u32 s5, s11, 0
	s_delay_alu instid0(VALU_DEP_1) | instid1(SALU_CYCLE_1)
	v_cmpx_gt_i64_e64 s[4:5], v[1:2]
	s_cbranch_execz .LBB36_33
; %bb.22:
	s_load_b64 s[8:9], s[0:1], 0x38
	v_mov_b32_e32 v3, -1
	s_mov_b32 s7, 0
	s_branch .LBB36_24
.LBB36_23:                              ;   in Loop: Header=BB36_24 Depth=1
	s_or_b32 exec_lo, exec_lo, s11
	v_add_co_u32 v1, vcc_lo, v1, 32
	v_add_co_ci_u32_e32 v2, vcc_lo, 0, v2, vcc_lo
	v_cndmask_b32_e64 v4, 0, 1, s10
	s_delay_alu instid0(VALU_DEP_2) | instskip(NEXT) | instid1(VALU_DEP_2)
	v_cmp_le_i64_e32 vcc_lo, s[4:5], v[1:2]
	v_add_nc_u32_e32 v10, v10, v4
	s_or_b32 s7, vcc_lo, s7
	s_delay_alu instid0(SALU_CYCLE_1)
	s_and_not1_b32 exec_lo, exec_lo, s7
	s_cbranch_execz .LBB36_32
.LBB36_24:                              ; =>This Loop Header: Depth=1
                                        ;     Child Loop BB36_27 Depth 2
	v_lshlrev_b64 v[4:5], 2, v[1:2]
	s_mov_b32 s11, 0
                                        ; implicit-def: $sgpr10
                                        ; implicit-def: $sgpr13
                                        ; implicit-def: $sgpr14
                                        ; implicit-def: $sgpr15
	s_waitcnt lgkmcnt(0)
	s_delay_alu instid0(VALU_DEP_1) | instskip(NEXT) | instid1(VALU_DEP_2)
	v_add_co_u32 v4, vcc_lo, s8, v4
	v_add_co_ci_u32_e32 v5, vcc_lo, s9, v5, vcc_lo
	global_load_b32 v4, v[4:5], off
	s_waitcnt vmcnt(0)
	v_subrev_nc_u32_e32 v4, s6, v4
	s_delay_alu instid0(VALU_DEP_1) | instskip(NEXT) | instid1(VALU_DEP_1)
	v_mul_lo_u32 v5, 0x4f, v4
	v_and_b32_e32 v5, 0xfff, v5
	s_branch .LBB36_27
.LBB36_25:                              ;   in Loop: Header=BB36_27 Depth=2
	s_or_b32 exec_lo, exec_lo, s19
	s_delay_alu instid0(SALU_CYCLE_1)
	s_and_not1_b32 s2, s14, exec_lo
	s_and_b32 s14, s17, exec_lo
	s_and_not1_b32 s13, s13, exec_lo
	s_and_b32 s15, s18, exec_lo
	s_or_b32 s14, s2, s14
	s_or_b32 s13, s13, s15
                                        ; implicit-def: $sgpr15
.LBB36_26:                              ;   in Loop: Header=BB36_27 Depth=2
	s_or_b32 exec_lo, exec_lo, s16
	s_xor_b32 s2, s13, -1
	s_delay_alu instid0(SALU_CYCLE_1) | instskip(NEXT) | instid1(SALU_CYCLE_1)
	s_and_b32 s2, exec_lo, s2
	s_or_b32 s11, s2, s11
	s_and_not1_b32 s2, s15, exec_lo
	s_and_b32 s16, s14, exec_lo
	s_and_not1_b32 s10, s10, exec_lo
	s_or_b32 s15, s2, s16
	s_or_b32 s10, s10, s16
	s_and_not1_b32 exec_lo, exec_lo, s11
	s_cbranch_execz .LBB36_23
.LBB36_27:                              ;   Parent Loop BB36_24 Depth=1
                                        ; =>  This Inner Loop Header: Depth=2
	s_delay_alu instid0(VALU_DEP_1)
	v_lshl_add_u32 v6, v5, 2, 0
	s_and_not1_b32 s14, s14, exec_lo
	s_and_not1_b32 s13, s13, exec_lo
	s_mov_b32 s16, exec_lo
	ds_load_b32 v11, v6
	s_waitcnt lgkmcnt(0)
	v_cmpx_ne_u32_e64 v11, v4
	s_cbranch_execz .LBB36_26
; %bb.28:                               ;   in Loop: Header=BB36_27 Depth=2
	s_mov_b32 s2, exec_lo
                                        ; implicit-def: $sgpr17
                                        ; implicit-def: $sgpr18
	v_cmpx_ne_u32_e32 -1, v11
	s_xor_b32 s2, exec_lo, s2
; %bb.29:                               ;   in Loop: Header=BB36_27 Depth=2
	v_add_nc_u32_e32 v5, 1, v5
	s_mov_b32 s18, -1
	s_and_b32 s17, s15, exec_lo
                                        ; implicit-def: $vgpr6
	s_delay_alu instid0(VALU_DEP_1)
	v_and_b32_e32 v5, 0xfff, v5
; %bb.30:                               ;   in Loop: Header=BB36_27 Depth=2
	s_and_not1_saveexec_b32 s19, s2
	s_cbranch_execz .LBB36_25
; %bb.31:                               ;   in Loop: Header=BB36_27 Depth=2
	ds_cmpstore_rtn_b32 v6, v6, v4, v3
	s_and_not1_b32 s18, s18, exec_lo
	s_and_not1_b32 s17, s17, exec_lo
	s_waitcnt lgkmcnt(0)
	v_cmp_eq_u32_e32 vcc_lo, -1, v6
	v_cmp_ne_u32_e64 s2, -1, v6
	s_or_b32 s15, vcc_lo, s15
	s_delay_alu instid0(VALU_DEP_1)
	s_and_b32 s2, s2, exec_lo
	s_and_b32 s15, s15, exec_lo
	s_or_b32 s18, s18, s2
	s_or_b32 s17, s17, s15
	s_branch .LBB36_25
.LBB36_32:
	s_or_b32 exec_lo, exec_lo, s7
.LBB36_33:
	s_delay_alu instid0(SALU_CYCLE_1)
	s_or_b32 exec_lo, exec_lo, s3
.LBB36_34:
	v_mbcnt_lo_u32_b32 v1, -1, 0
	s_mov_b32 s2, exec_lo
	s_barrier
	buffer_gl0_inv
	v_xor_b32_e32 v2, 8, v1
	v_xor_b32_e32 v3, 4, v1
	s_delay_alu instid0(VALU_DEP_2) | instskip(SKIP_1) | instid1(VALU_DEP_3)
	v_cmp_gt_i32_e32 vcc_lo, 32, v2
	v_cndmask_b32_e32 v2, v1, v2, vcc_lo
	v_cmp_gt_i32_e32 vcc_lo, 32, v3
	v_cndmask_b32_e32 v3, v1, v3, vcc_lo
	s_delay_alu instid0(VALU_DEP_1) | instskip(NEXT) | instid1(VALU_DEP_4)
	v_lshlrev_b32_e32 v3, 2, v3
	v_lshlrev_b32_e32 v2, 2, v2
	ds_bpermute_b32 v4, v2, v10
	s_waitcnt lgkmcnt(0)
	v_add_nc_u32_e32 v5, v4, v10
	v_xor_b32_e32 v4, 2, v1
	v_xor_b32_e32 v10, 1, v1
	s_delay_alu instid0(VALU_DEP_2)
	v_cmp_gt_i32_e32 vcc_lo, 32, v4
	v_cndmask_b32_e32 v4, v1, v4, vcc_lo
	ds_bpermute_b32 v6, v3, v5
	v_cmp_gt_i32_e32 vcc_lo, 32, v10
	v_lshlrev_b32_e32 v4, 2, v4
	s_waitcnt lgkmcnt(0)
	v_dual_cndmask_b32 v10, v1, v10 :: v_dual_add_nc_u32 v5, v6, v5
	ds_bpermute_b32 v6, v4, v5
	s_waitcnt lgkmcnt(0)
	v_add_nc_u32_e32 v6, v6, v5
	v_lshlrev_b32_e32 v5, 2, v10
	ds_bpermute_b32 v10, v5, v6
	v_cmpx_eq_u32_e32 15, v9
	s_cbranch_execz .LBB36_36
; %bb.35:
	v_lshl_add_u32 v8, v8, 2, 0
	s_waitcnt lgkmcnt(0)
	v_add_nc_u32_e32 v6, v10, v6
	ds_store_b32 v8, v6
.LBB36_36:
	s_or_b32 exec_lo, exec_lo, s2
	v_mov_b32_e32 v6, 0
	s_mov_b32 s2, exec_lo
	s_waitcnt lgkmcnt(0)
	s_barrier
	buffer_gl0_inv
	v_cmpx_gt_u32_e32 32, v0
	s_cbranch_execz .LBB36_38
; %bb.37:
	ds_load_b32 v6, v7
.LBB36_38:
	s_or_b32 exec_lo, exec_lo, s2
	v_xor_b32_e32 v7, 16, v1
	s_mov_b32 s2, exec_lo
	s_delay_alu instid0(VALU_DEP_1) | instskip(SKIP_1) | instid1(VALU_DEP_1)
	v_cmp_gt_i32_e32 vcc_lo, 32, v7
	v_cndmask_b32_e32 v1, v1, v7, vcc_lo
	v_lshlrev_b32_e32 v1, 2, v1
	s_waitcnt lgkmcnt(0)
	ds_bpermute_b32 v1, v1, v6
	s_waitcnt lgkmcnt(0)
	v_add_nc_u32_e32 v1, v1, v6
	ds_bpermute_b32 v2, v2, v1
	s_waitcnt lgkmcnt(0)
	v_add_nc_u32_e32 v1, v2, v1
	ds_bpermute_b32 v2, v3, v1
	s_waitcnt lgkmcnt(0)
	v_add_nc_u32_e32 v1, v2, v1
	ds_bpermute_b32 v2, v4, v1
	s_waitcnt lgkmcnt(0)
	v_add_nc_u32_e32 v1, v2, v1
	ds_bpermute_b32 v2, v5, v1
	v_cmpx_eq_u32_e32 31, v0
	s_cbranch_execz .LBB36_40
; %bb.39:
	s_load_b64 s[0:1], s[0:1], 0x40
	s_waitcnt lgkmcnt(0)
	v_add_nc_u32_e32 v0, v2, v1
	s_ashr_i32 s13, s12, 31
	v_mov_b32_e32 v2, 0
	s_lshl_b64 s[2:3], s[12:13], 3
	s_delay_alu instid0(VALU_DEP_2)
	v_ashrrev_i32_e32 v1, 31, v0
	s_add_u32 s0, s0, s2
	s_addc_u32 s1, s1, s3
	global_store_b64 v2, v[0:1], s[0:1]
.LBB36_40:
	s_nop 0
	s_sendmsg sendmsg(MSG_DEALLOC_VGPRS)
	s_endpgm
	.section	.rodata,"a",@progbits
	.p2align	6, 0x0
	.amdhsa_kernel _ZN9rocsparseL25csrgemm_nnz_block_per_rowILj512ELj16ELj4096ELj79EliEEvPKT4_S3_PKT3_S3_S6_S3_S6_S3_PS4_21rocsparse_index_base_S8_S8_bb
		.amdhsa_group_segment_fixed_size 0
		.amdhsa_private_segment_fixed_size 0
		.amdhsa_kernarg_size 88
		.amdhsa_user_sgpr_count 15
		.amdhsa_user_sgpr_dispatch_ptr 0
		.amdhsa_user_sgpr_queue_ptr 0
		.amdhsa_user_sgpr_kernarg_segment_ptr 1
		.amdhsa_user_sgpr_dispatch_id 0
		.amdhsa_user_sgpr_private_segment_size 0
		.amdhsa_wavefront_size32 1
		.amdhsa_uses_dynamic_stack 0
		.amdhsa_enable_private_segment 0
		.amdhsa_system_sgpr_workgroup_id_x 1
		.amdhsa_system_sgpr_workgroup_id_y 0
		.amdhsa_system_sgpr_workgroup_id_z 0
		.amdhsa_system_sgpr_workgroup_info 0
		.amdhsa_system_vgpr_workitem_id 0
		.amdhsa_next_free_vgpr 18
		.amdhsa_next_free_sgpr 29
		.amdhsa_reserve_vcc 1
		.amdhsa_float_round_mode_32 0
		.amdhsa_float_round_mode_16_64 0
		.amdhsa_float_denorm_mode_32 3
		.amdhsa_float_denorm_mode_16_64 3
		.amdhsa_dx10_clamp 1
		.amdhsa_ieee_mode 1
		.amdhsa_fp16_overflow 0
		.amdhsa_workgroup_processor_mode 1
		.amdhsa_memory_ordered 1
		.amdhsa_forward_progress 0
		.amdhsa_shared_vgpr_count 0
		.amdhsa_exception_fp_ieee_invalid_op 0
		.amdhsa_exception_fp_denorm_src 0
		.amdhsa_exception_fp_ieee_div_zero 0
		.amdhsa_exception_fp_ieee_overflow 0
		.amdhsa_exception_fp_ieee_underflow 0
		.amdhsa_exception_fp_ieee_inexact 0
		.amdhsa_exception_int_div_zero 0
	.end_amdhsa_kernel
	.section	.text._ZN9rocsparseL25csrgemm_nnz_block_per_rowILj512ELj16ELj4096ELj79EliEEvPKT4_S3_PKT3_S3_S6_S3_S6_S3_PS4_21rocsparse_index_base_S8_S8_bb,"axG",@progbits,_ZN9rocsparseL25csrgemm_nnz_block_per_rowILj512ELj16ELj4096ELj79EliEEvPKT4_S3_PKT3_S3_S6_S3_S6_S3_PS4_21rocsparse_index_base_S8_S8_bb,comdat
.Lfunc_end36:
	.size	_ZN9rocsparseL25csrgemm_nnz_block_per_rowILj512ELj16ELj4096ELj79EliEEvPKT4_S3_PKT3_S3_S6_S3_S6_S3_PS4_21rocsparse_index_base_S8_S8_bb, .Lfunc_end36-_ZN9rocsparseL25csrgemm_nnz_block_per_rowILj512ELj16ELj4096ELj79EliEEvPKT4_S3_PKT3_S3_S6_S3_S6_S3_PS4_21rocsparse_index_base_S8_S8_bb
                                        ; -- End function
	.section	.AMDGPU.csdata,"",@progbits
; Kernel info:
; codeLenInByte = 1848
; NumSgprs: 31
; NumVgprs: 18
; ScratchSize: 0
; MemoryBound: 0
; FloatMode: 240
; IeeeMode: 1
; LDSByteSize: 0 bytes/workgroup (compile time only)
; SGPRBlocks: 3
; VGPRBlocks: 2
; NumSGPRsForWavesPerEU: 31
; NumVGPRsForWavesPerEU: 18
; Occupancy: 16
; WaveLimiterHint : 1
; COMPUTE_PGM_RSRC2:SCRATCH_EN: 0
; COMPUTE_PGM_RSRC2:USER_SGPR: 15
; COMPUTE_PGM_RSRC2:TRAP_HANDLER: 0
; COMPUTE_PGM_RSRC2:TGID_X_EN: 1
; COMPUTE_PGM_RSRC2:TGID_Y_EN: 0
; COMPUTE_PGM_RSRC2:TGID_Z_EN: 0
; COMPUTE_PGM_RSRC2:TIDIG_COMP_CNT: 0
	.section	.text._ZN9rocsparseL25csrgemm_nnz_block_per_rowILj1024ELj32ELj8192ELj79EliEEvPKT4_S3_PKT3_S3_S6_S3_S6_S3_PS4_21rocsparse_index_base_S8_S8_bb,"axG",@progbits,_ZN9rocsparseL25csrgemm_nnz_block_per_rowILj1024ELj32ELj8192ELj79EliEEvPKT4_S3_PKT3_S3_S6_S3_S6_S3_PS4_21rocsparse_index_base_S8_S8_bb,comdat
	.globl	_ZN9rocsparseL25csrgemm_nnz_block_per_rowILj1024ELj32ELj8192ELj79EliEEvPKT4_S3_PKT3_S3_S6_S3_S6_S3_PS4_21rocsparse_index_base_S8_S8_bb ; -- Begin function _ZN9rocsparseL25csrgemm_nnz_block_per_rowILj1024ELj32ELj8192ELj79EliEEvPKT4_S3_PKT3_S3_S6_S3_S6_S3_PS4_21rocsparse_index_base_S8_S8_bb
	.p2align	8
	.type	_ZN9rocsparseL25csrgemm_nnz_block_per_rowILj1024ELj32ELj8192ELj79EliEEvPKT4_S3_PKT3_S3_S6_S3_S6_S3_PS4_21rocsparse_index_base_S8_S8_bb,@function
_ZN9rocsparseL25csrgemm_nnz_block_per_rowILj1024ELj32ELj8192ELj79EliEEvPKT4_S3_PKT3_S3_S6_S3_S6_S3_PS4_21rocsparse_index_base_S8_S8_bb: ; @_ZN9rocsparseL25csrgemm_nnz_block_per_rowILj1024ELj32ELj8192ELj79EliEEvPKT4_S3_PKT3_S3_S6_S3_S6_S3_PS4_21rocsparse_index_base_S8_S8_bb
; %bb.0:
	s_clause 0x1
	s_load_b128 s[8:11], s[0:1], 0x0
	s_load_b128 s[4:7], s[0:1], 0x48
	s_mov_b32 s3, 0
	v_lshl_add_u32 v7, v0, 2, 0
	v_dual_mov_b32 v1, -1 :: v_dual_mov_b32 v10, 0
	v_and_b32_e32 v9, 31, v0
	v_lshrrev_b32_e32 v8, 5, v0
	s_waitcnt lgkmcnt(0)
	s_load_b32 s2, s[8:9], 0x0
	s_waitcnt lgkmcnt(0)
	s_add_i32 s2, s2, s15
	s_delay_alu instid0(SALU_CYCLE_1) | instskip(NEXT) | instid1(SALU_CYCLE_1)
	s_lshl_b64 s[2:3], s[2:3], 2
	s_add_u32 s2, s10, s2
	s_addc_u32 s3, s11, s3
	s_bitcmp0_b32 s7, 0
	s_load_b32 s12, s[2:3], 0x0
	ds_store_2addr_stride64_b32 v7, v1, v1 offset1:16
	ds_store_2addr_stride64_b32 v7, v1, v1 offset0:32 offset1:48
	ds_store_2addr_stride64_b32 v7, v1, v1 offset0:64 offset1:80
	;; [unrolled: 1-line block ×3, first 2 shown]
	s_waitcnt lgkmcnt(0)
	s_barrier
	buffer_gl0_inv
	s_cbranch_scc1 .LBB37_18
; %bb.1:
	s_load_b64 s[2:3], s[0:1], 0x10
	s_ashr_i32 s13, s12, 31
	v_mov_b32_e32 v10, 0
	s_lshl_b64 s[8:9], s[12:13], 3
	s_waitcnt lgkmcnt(0)
	s_add_u32 s2, s2, s8
	s_addc_u32 s3, s3, s9
	s_load_b128 s[8:11], s[2:3], 0x0
	v_sub_co_u32 v1, s2, v8, s4
	s_delay_alu instid0(VALU_DEP_1) | instskip(SKIP_2) | instid1(VALU_DEP_2)
	v_sub_co_ci_u32_e64 v2, null, 0, 0, s2
	s_mov_b32 s3, exec_lo
	s_waitcnt lgkmcnt(0)
	v_add_co_u32 v1, vcc_lo, v1, s8
	s_delay_alu instid0(VALU_DEP_2)
	v_add_co_ci_u32_e32 v2, vcc_lo, s9, v2, vcc_lo
	s_sub_u32 s14, s10, s4
	s_subb_u32 s15, s11, 0
	s_delay_alu instid0(VALU_DEP_1) | instid1(SALU_CYCLE_1)
	v_cmpx_gt_i64_e64 s[14:15], v[1:2]
	s_cbranch_execz .LBB37_17
; %bb.2:
	s_clause 0x1
	s_load_b128 s[8:11], s[0:1], 0x18
	s_load_b64 s[16:17], s[0:1], 0x28
	v_sub_co_u32 v11, s2, v9, s5
	v_dual_mov_b32 v10, 0 :: v_dual_mov_b32 v13, -1
	v_sub_co_ci_u32_e64 v12, null, 0, 0, s2
	s_mov_b32 s7, 0
	s_mov_b32 s13, s5
	s_branch .LBB37_5
.LBB37_3:                               ;   in Loop: Header=BB37_5 Depth=1
	s_or_b32 exec_lo, exec_lo, s19
.LBB37_4:                               ;   in Loop: Header=BB37_5 Depth=1
	s_delay_alu instid0(SALU_CYCLE_1) | instskip(SKIP_2) | instid1(VALU_DEP_1)
	s_or_b32 exec_lo, exec_lo, s18
	v_add_co_u32 v1, vcc_lo, v1, 32
	v_add_co_ci_u32_e32 v2, vcc_lo, 0, v2, vcc_lo
	v_cmp_le_i64_e32 vcc_lo, s[14:15], v[1:2]
	s_or_b32 s7, vcc_lo, s7
	s_delay_alu instid0(SALU_CYCLE_1)
	s_and_not1_b32 exec_lo, exec_lo, s7
	s_cbranch_execz .LBB37_16
.LBB37_5:                               ; =>This Loop Header: Depth=1
                                        ;     Child Loop BB37_8 Depth 2
                                        ;       Child Loop BB37_11 Depth 3
	v_lshlrev_b64 v[3:4], 2, v[1:2]
	s_mov_b32 s18, exec_lo
	s_waitcnt lgkmcnt(0)
	s_delay_alu instid0(VALU_DEP_1) | instskip(NEXT) | instid1(VALU_DEP_2)
	v_add_co_u32 v3, vcc_lo, s8, v3
	v_add_co_ci_u32_e32 v4, vcc_lo, s9, v4, vcc_lo
	global_load_b32 v3, v[3:4], off
	s_waitcnt vmcnt(0)
	v_subrev_nc_u32_e32 v3, s4, v3
	s_delay_alu instid0(VALU_DEP_1) | instskip(NEXT) | instid1(VALU_DEP_1)
	v_ashrrev_i32_e32 v4, 31, v3
	v_lshlrev_b64 v[3:4], 3, v[3:4]
	s_delay_alu instid0(VALU_DEP_1) | instskip(NEXT) | instid1(VALU_DEP_2)
	v_add_co_u32 v3, vcc_lo, s10, v3
	v_add_co_ci_u32_e32 v4, vcc_lo, s11, v4, vcc_lo
	global_load_b128 v[14:17], v[3:4], off
	s_waitcnt vmcnt(0)
	v_sub_co_u32 v3, vcc_lo, v16, s13
	v_subrev_co_ci_u32_e32 v4, vcc_lo, 0, v17, vcc_lo
	v_add_co_u32 v5, vcc_lo, v11, v14
	v_add_co_ci_u32_e32 v6, vcc_lo, v12, v15, vcc_lo
	s_delay_alu instid0(VALU_DEP_1)
	v_cmpx_lt_i64_e64 v[5:6], v[3:4]
	s_cbranch_execz .LBB37_4
; %bb.6:                                ;   in Loop: Header=BB37_5 Depth=1
	s_mov_b32 s19, 0
	s_branch .LBB37_8
.LBB37_7:                               ;   in Loop: Header=BB37_8 Depth=2
	s_or_b32 exec_lo, exec_lo, s21
	v_add_co_u32 v5, vcc_lo, v5, 32
	v_add_co_ci_u32_e32 v6, vcc_lo, 0, v6, vcc_lo
	v_cndmask_b32_e64 v14, 0, 1, s20
	s_delay_alu instid0(VALU_DEP_2) | instskip(NEXT) | instid1(VALU_DEP_2)
	v_cmp_ge_i64_e32 vcc_lo, v[5:6], v[3:4]
	v_add_nc_u32_e32 v10, v10, v14
	s_or_b32 s19, vcc_lo, s19
	s_delay_alu instid0(SALU_CYCLE_1)
	s_and_not1_b32 exec_lo, exec_lo, s19
	s_cbranch_execz .LBB37_3
.LBB37_8:                               ;   Parent Loop BB37_5 Depth=1
                                        ; =>  This Loop Header: Depth=2
                                        ;       Child Loop BB37_11 Depth 3
	v_lshlrev_b64 v[14:15], 2, v[5:6]
	s_mov_b32 s21, 0
                                        ; implicit-def: $sgpr20
                                        ; implicit-def: $sgpr22
                                        ; implicit-def: $sgpr23
                                        ; implicit-def: $sgpr24
	s_delay_alu instid0(VALU_DEP_1) | instskip(NEXT) | instid1(VALU_DEP_2)
	v_add_co_u32 v14, vcc_lo, s16, v14
	v_add_co_ci_u32_e32 v15, vcc_lo, s17, v15, vcc_lo
	global_load_b32 v14, v[14:15], off
	s_waitcnt vmcnt(0)
	v_subrev_nc_u32_e32 v14, s5, v14
	s_delay_alu instid0(VALU_DEP_1) | instskip(NEXT) | instid1(VALU_DEP_1)
	v_mul_lo_u32 v15, 0x4f, v14
	v_and_b32_e32 v15, 0x1fff, v15
	s_branch .LBB37_11
.LBB37_9:                               ;   in Loop: Header=BB37_11 Depth=3
	s_or_b32 exec_lo, exec_lo, s28
	s_delay_alu instid0(SALU_CYCLE_1)
	s_and_not1_b32 s2, s23, exec_lo
	s_and_b32 s23, s26, exec_lo
	s_and_not1_b32 s22, s22, exec_lo
	s_and_b32 s24, s27, exec_lo
	s_or_b32 s23, s2, s23
	s_or_b32 s22, s22, s24
                                        ; implicit-def: $sgpr24
.LBB37_10:                              ;   in Loop: Header=BB37_11 Depth=3
	s_or_b32 exec_lo, exec_lo, s25
	s_xor_b32 s2, s22, -1
	s_delay_alu instid0(SALU_CYCLE_1) | instskip(NEXT) | instid1(SALU_CYCLE_1)
	s_and_b32 s2, exec_lo, s2
	s_or_b32 s21, s2, s21
	s_and_not1_b32 s2, s24, exec_lo
	s_and_b32 s25, s23, exec_lo
	s_and_not1_b32 s20, s20, exec_lo
	s_or_b32 s24, s2, s25
	s_or_b32 s20, s20, s25
	s_and_not1_b32 exec_lo, exec_lo, s21
	s_cbranch_execz .LBB37_7
.LBB37_11:                              ;   Parent Loop BB37_5 Depth=1
                                        ;     Parent Loop BB37_8 Depth=2
                                        ; =>    This Inner Loop Header: Depth=3
	s_delay_alu instid0(VALU_DEP_1)
	v_lshl_add_u32 v16, v15, 2, 0
	s_and_not1_b32 s23, s23, exec_lo
	s_and_not1_b32 s22, s22, exec_lo
	s_mov_b32 s25, exec_lo
	ds_load_b32 v17, v16
	s_waitcnt lgkmcnt(0)
	v_cmpx_ne_u32_e64 v17, v14
	s_cbranch_execz .LBB37_10
; %bb.12:                               ;   in Loop: Header=BB37_11 Depth=3
	s_mov_b32 s2, exec_lo
                                        ; implicit-def: $sgpr26
                                        ; implicit-def: $sgpr27
	v_cmpx_ne_u32_e32 -1, v17
	s_xor_b32 s2, exec_lo, s2
; %bb.13:                               ;   in Loop: Header=BB37_11 Depth=3
	v_add_nc_u32_e32 v15, 1, v15
	s_mov_b32 s27, -1
	s_and_b32 s26, s24, exec_lo
                                        ; implicit-def: $vgpr16
	s_delay_alu instid0(VALU_DEP_1)
	v_and_b32_e32 v15, 0x1fff, v15
; %bb.14:                               ;   in Loop: Header=BB37_11 Depth=3
	s_and_not1_saveexec_b32 s28, s2
	s_cbranch_execz .LBB37_9
; %bb.15:                               ;   in Loop: Header=BB37_11 Depth=3
	ds_cmpstore_rtn_b32 v16, v16, v14, v13
	s_and_not1_b32 s27, s27, exec_lo
	s_and_not1_b32 s26, s26, exec_lo
	s_waitcnt lgkmcnt(0)
	v_cmp_eq_u32_e32 vcc_lo, -1, v16
	v_cmp_ne_u32_e64 s2, -1, v16
	s_or_b32 s24, vcc_lo, s24
	s_delay_alu instid0(VALU_DEP_1)
	s_and_b32 s2, s2, exec_lo
	s_and_b32 s24, s24, exec_lo
	s_or_b32 s27, s27, s2
	s_or_b32 s26, s26, s24
	s_branch .LBB37_9
.LBB37_16:
	s_or_b32 exec_lo, exec_lo, s7
.LBB37_17:
	s_delay_alu instid0(SALU_CYCLE_1)
	s_or_b32 exec_lo, exec_lo, s3
.LBB37_18:
	s_load_b32 s2, s[0:1], 0x54
	s_waitcnt lgkmcnt(0)
	s_bfe_u32 s2, s2, 0x10008
	s_delay_alu instid0(SALU_CYCLE_1)
	s_cmp_eq_u32 s2, 0
	s_cbranch_scc1 .LBB37_32
; %bb.19:
	s_load_b64 s[2:3], s[0:1], 0x30
	s_ashr_i32 s13, s12, 31
	s_mov_b32 s7, 0
	s_lshl_b64 s[4:5], s[12:13], 3
	s_waitcnt lgkmcnt(0)
	s_add_u32 s2, s2, s4
	s_addc_u32 s3, s3, s5
	s_load_b128 s[8:11], s[2:3], 0x0
	v_sub_co_u32 v1, s2, v8, s6
	s_delay_alu instid0(VALU_DEP_1) | instskip(SKIP_2) | instid1(VALU_DEP_2)
	v_sub_co_ci_u32_e64 v2, null, 0, 0, s2
	s_mov_b32 s3, exec_lo
	s_waitcnt lgkmcnt(0)
	v_add_co_u32 v1, vcc_lo, v1, s8
	s_delay_alu instid0(VALU_DEP_2)
	v_add_co_ci_u32_e32 v2, vcc_lo, s9, v2, vcc_lo
	s_sub_u32 s4, s10, s6
	s_subb_u32 s5, s11, 0
	s_delay_alu instid0(VALU_DEP_1) | instid1(SALU_CYCLE_1)
	v_cmpx_gt_i64_e64 s[4:5], v[1:2]
	s_cbranch_execz .LBB37_31
; %bb.20:
	s_load_b64 s[8:9], s[0:1], 0x38
	v_mov_b32_e32 v3, -1
	s_branch .LBB37_22
.LBB37_21:                              ;   in Loop: Header=BB37_22 Depth=1
	s_or_b32 exec_lo, exec_lo, s11
	v_add_co_u32 v1, vcc_lo, v1, 32
	v_add_co_ci_u32_e32 v2, vcc_lo, 0, v2, vcc_lo
	v_cndmask_b32_e64 v4, 0, 1, s10
	s_delay_alu instid0(VALU_DEP_2) | instskip(NEXT) | instid1(VALU_DEP_2)
	v_cmp_le_i64_e32 vcc_lo, s[4:5], v[1:2]
	v_add_nc_u32_e32 v10, v10, v4
	s_or_b32 s7, vcc_lo, s7
	s_delay_alu instid0(SALU_CYCLE_1)
	s_and_not1_b32 exec_lo, exec_lo, s7
	s_cbranch_execz .LBB37_30
.LBB37_22:                              ; =>This Loop Header: Depth=1
                                        ;     Child Loop BB37_25 Depth 2
	v_lshlrev_b64 v[4:5], 2, v[1:2]
	s_mov_b32 s11, 0
                                        ; implicit-def: $sgpr10
                                        ; implicit-def: $sgpr13
                                        ; implicit-def: $sgpr14
                                        ; implicit-def: $sgpr15
	s_waitcnt lgkmcnt(0)
	s_delay_alu instid0(VALU_DEP_1) | instskip(NEXT) | instid1(VALU_DEP_2)
	v_add_co_u32 v4, vcc_lo, s8, v4
	v_add_co_ci_u32_e32 v5, vcc_lo, s9, v5, vcc_lo
	global_load_b32 v4, v[4:5], off
	s_waitcnt vmcnt(0)
	v_subrev_nc_u32_e32 v4, s6, v4
	s_delay_alu instid0(VALU_DEP_1) | instskip(NEXT) | instid1(VALU_DEP_1)
	v_mul_lo_u32 v5, 0x4f, v4
	v_and_b32_e32 v5, 0x1fff, v5
	s_branch .LBB37_25
.LBB37_23:                              ;   in Loop: Header=BB37_25 Depth=2
	s_or_b32 exec_lo, exec_lo, s19
	s_delay_alu instid0(SALU_CYCLE_1)
	s_and_not1_b32 s2, s14, exec_lo
	s_and_b32 s14, s17, exec_lo
	s_and_not1_b32 s13, s13, exec_lo
	s_and_b32 s15, s18, exec_lo
	s_or_b32 s14, s2, s14
	s_or_b32 s13, s13, s15
                                        ; implicit-def: $sgpr15
.LBB37_24:                              ;   in Loop: Header=BB37_25 Depth=2
	s_or_b32 exec_lo, exec_lo, s16
	s_xor_b32 s2, s13, -1
	s_delay_alu instid0(SALU_CYCLE_1) | instskip(NEXT) | instid1(SALU_CYCLE_1)
	s_and_b32 s2, exec_lo, s2
	s_or_b32 s11, s2, s11
	s_and_not1_b32 s2, s15, exec_lo
	s_and_b32 s16, s14, exec_lo
	s_and_not1_b32 s10, s10, exec_lo
	s_or_b32 s15, s2, s16
	s_or_b32 s10, s10, s16
	s_and_not1_b32 exec_lo, exec_lo, s11
	s_cbranch_execz .LBB37_21
.LBB37_25:                              ;   Parent Loop BB37_22 Depth=1
                                        ; =>  This Inner Loop Header: Depth=2
	s_delay_alu instid0(VALU_DEP_1)
	v_lshl_add_u32 v6, v5, 2, 0
	s_and_not1_b32 s14, s14, exec_lo
	s_and_not1_b32 s13, s13, exec_lo
	s_mov_b32 s16, exec_lo
	ds_load_b32 v11, v6
	s_waitcnt lgkmcnt(0)
	v_cmpx_ne_u32_e64 v11, v4
	s_cbranch_execz .LBB37_24
; %bb.26:                               ;   in Loop: Header=BB37_25 Depth=2
	s_mov_b32 s2, exec_lo
                                        ; implicit-def: $sgpr17
                                        ; implicit-def: $sgpr18
	v_cmpx_ne_u32_e32 -1, v11
	s_xor_b32 s2, exec_lo, s2
; %bb.27:                               ;   in Loop: Header=BB37_25 Depth=2
	v_add_nc_u32_e32 v5, 1, v5
	s_mov_b32 s18, -1
	s_and_b32 s17, s15, exec_lo
                                        ; implicit-def: $vgpr6
	s_delay_alu instid0(VALU_DEP_1)
	v_and_b32_e32 v5, 0x1fff, v5
; %bb.28:                               ;   in Loop: Header=BB37_25 Depth=2
	s_and_not1_saveexec_b32 s19, s2
	s_cbranch_execz .LBB37_23
; %bb.29:                               ;   in Loop: Header=BB37_25 Depth=2
	ds_cmpstore_rtn_b32 v6, v6, v4, v3
	s_and_not1_b32 s18, s18, exec_lo
	s_and_not1_b32 s17, s17, exec_lo
	s_waitcnt lgkmcnt(0)
	v_cmp_eq_u32_e32 vcc_lo, -1, v6
	v_cmp_ne_u32_e64 s2, -1, v6
	s_or_b32 s15, vcc_lo, s15
	s_delay_alu instid0(VALU_DEP_1)
	s_and_b32 s2, s2, exec_lo
	s_and_b32 s15, s15, exec_lo
	s_or_b32 s18, s18, s2
	s_or_b32 s17, s17, s15
	s_branch .LBB37_23
.LBB37_30:
	s_or_b32 exec_lo, exec_lo, s7
.LBB37_31:
	s_delay_alu instid0(SALU_CYCLE_1)
	s_or_b32 exec_lo, exec_lo, s3
.LBB37_32:
	v_mbcnt_lo_u32_b32 v5, -1, 0
	s_mov_b32 s2, exec_lo
	s_barrier
	buffer_gl0_inv
	v_xor_b32_e32 v1, 16, v5
	v_xor_b32_e32 v2, 8, v5
	;; [unrolled: 1-line block ×3, first 2 shown]
	s_delay_alu instid0(VALU_DEP_3) | instskip(SKIP_1) | instid1(VALU_DEP_4)
	v_cmp_gt_i32_e32 vcc_lo, 32, v1
	v_cndmask_b32_e32 v1, v5, v1, vcc_lo
	v_cmp_gt_i32_e32 vcc_lo, 32, v2
	v_cndmask_b32_e32 v2, v5, v2, vcc_lo
	s_delay_alu instid0(VALU_DEP_1) | instskip(NEXT) | instid1(VALU_DEP_4)
	v_lshlrev_b32_e32 v2, 2, v2
	v_lshlrev_b32_e32 v1, 2, v1
	ds_bpermute_b32 v3, v1, v10
	s_waitcnt lgkmcnt(0)
	v_add_nc_u32_e32 v4, v3, v10
	v_xor_b32_e32 v3, 4, v5
	s_delay_alu instid0(VALU_DEP_1)
	v_cmp_gt_i32_e32 vcc_lo, 32, v3
	v_cndmask_b32_e32 v3, v5, v3, vcc_lo
	ds_bpermute_b32 v6, v2, v4
	v_lshlrev_b32_e32 v3, 2, v3
	s_waitcnt lgkmcnt(0)
	v_add_nc_u32_e32 v6, v6, v4
	v_xor_b32_e32 v4, 2, v5
	s_delay_alu instid0(VALU_DEP_1) | instskip(SKIP_2) | instid1(VALU_DEP_2)
	v_cmp_gt_i32_e32 vcc_lo, 32, v4
	v_cndmask_b32_e32 v4, v5, v4, vcc_lo
	v_cmp_gt_i32_e32 vcc_lo, 32, v11
	v_dual_cndmask_b32 v5, v5, v11 :: v_dual_lshlrev_b32 v4, 2, v4
	ds_bpermute_b32 v10, v3, v6
	v_lshlrev_b32_e32 v5, 2, v5
	s_waitcnt lgkmcnt(0)
	v_add_nc_u32_e32 v6, v10, v6
	ds_bpermute_b32 v10, v4, v6
	s_waitcnt lgkmcnt(0)
	v_add_nc_u32_e32 v6, v10, v6
	ds_bpermute_b32 v10, v5, v6
	v_cmpx_eq_u32_e32 31, v9
	s_cbranch_execz .LBB37_34
; %bb.33:
	v_lshl_add_u32 v8, v8, 2, 0
	s_waitcnt lgkmcnt(0)
	v_add_nc_u32_e32 v6, v10, v6
	ds_store_b32 v8, v6
.LBB37_34:
	s_or_b32 exec_lo, exec_lo, s2
	v_mov_b32_e32 v6, 0
	s_mov_b32 s2, exec_lo
	s_waitcnt lgkmcnt(0)
	s_barrier
	buffer_gl0_inv
	v_cmpx_gt_u32_e32 32, v0
	s_cbranch_execz .LBB37_36
; %bb.35:
	ds_load_b32 v6, v7
.LBB37_36:
	s_or_b32 exec_lo, exec_lo, s2
	s_waitcnt lgkmcnt(0)
	ds_bpermute_b32 v1, v1, v6
	s_mov_b32 s2, exec_lo
	s_waitcnt lgkmcnt(0)
	v_add_nc_u32_e32 v1, v1, v6
	ds_bpermute_b32 v2, v2, v1
	s_waitcnt lgkmcnt(0)
	v_add_nc_u32_e32 v1, v2, v1
	ds_bpermute_b32 v2, v3, v1
	;; [unrolled: 3-line block ×4, first 2 shown]
	v_cmpx_eq_u32_e32 31, v0
	s_cbranch_execz .LBB37_38
; %bb.37:
	s_load_b64 s[0:1], s[0:1], 0x40
	s_waitcnt lgkmcnt(0)
	v_add_nc_u32_e32 v0, v2, v1
	s_ashr_i32 s13, s12, 31
	v_mov_b32_e32 v2, 0
	s_lshl_b64 s[2:3], s[12:13], 3
	s_delay_alu instid0(VALU_DEP_2)
	v_ashrrev_i32_e32 v1, 31, v0
	s_add_u32 s0, s0, s2
	s_addc_u32 s1, s1, s3
	global_store_b64 v2, v[0:1], s[0:1]
.LBB37_38:
	s_nop 0
	s_sendmsg sendmsg(MSG_DEALLOC_VGPRS)
	s_endpgm
	.section	.rodata,"a",@progbits
	.p2align	6, 0x0
	.amdhsa_kernel _ZN9rocsparseL25csrgemm_nnz_block_per_rowILj1024ELj32ELj8192ELj79EliEEvPKT4_S3_PKT3_S3_S6_S3_S6_S3_PS4_21rocsparse_index_base_S8_S8_bb
		.amdhsa_group_segment_fixed_size 0
		.amdhsa_private_segment_fixed_size 0
		.amdhsa_kernarg_size 88
		.amdhsa_user_sgpr_count 15
		.amdhsa_user_sgpr_dispatch_ptr 0
		.amdhsa_user_sgpr_queue_ptr 0
		.amdhsa_user_sgpr_kernarg_segment_ptr 1
		.amdhsa_user_sgpr_dispatch_id 0
		.amdhsa_user_sgpr_private_segment_size 0
		.amdhsa_wavefront_size32 1
		.amdhsa_uses_dynamic_stack 0
		.amdhsa_enable_private_segment 0
		.amdhsa_system_sgpr_workgroup_id_x 1
		.amdhsa_system_sgpr_workgroup_id_y 0
		.amdhsa_system_sgpr_workgroup_id_z 0
		.amdhsa_system_sgpr_workgroup_info 0
		.amdhsa_system_vgpr_workitem_id 0
		.amdhsa_next_free_vgpr 18
		.amdhsa_next_free_sgpr 29
		.amdhsa_reserve_vcc 1
		.amdhsa_float_round_mode_32 0
		.amdhsa_float_round_mode_16_64 0
		.amdhsa_float_denorm_mode_32 3
		.amdhsa_float_denorm_mode_16_64 3
		.amdhsa_dx10_clamp 1
		.amdhsa_ieee_mode 1
		.amdhsa_fp16_overflow 0
		.amdhsa_workgroup_processor_mode 1
		.amdhsa_memory_ordered 1
		.amdhsa_forward_progress 0
		.amdhsa_shared_vgpr_count 0
		.amdhsa_exception_fp_ieee_invalid_op 0
		.amdhsa_exception_fp_denorm_src 0
		.amdhsa_exception_fp_ieee_div_zero 0
		.amdhsa_exception_fp_ieee_overflow 0
		.amdhsa_exception_fp_ieee_underflow 0
		.amdhsa_exception_fp_ieee_inexact 0
		.amdhsa_exception_int_div_zero 0
	.end_amdhsa_kernel
	.section	.text._ZN9rocsparseL25csrgemm_nnz_block_per_rowILj1024ELj32ELj8192ELj79EliEEvPKT4_S3_PKT3_S3_S6_S3_S6_S3_PS4_21rocsparse_index_base_S8_S8_bb,"axG",@progbits,_ZN9rocsparseL25csrgemm_nnz_block_per_rowILj1024ELj32ELj8192ELj79EliEEvPKT4_S3_PKT3_S3_S6_S3_S6_S3_PS4_21rocsparse_index_base_S8_S8_bb,comdat
.Lfunc_end37:
	.size	_ZN9rocsparseL25csrgemm_nnz_block_per_rowILj1024ELj32ELj8192ELj79EliEEvPKT4_S3_PKT3_S3_S6_S3_S6_S3_PS4_21rocsparse_index_base_S8_S8_bb, .Lfunc_end37-_ZN9rocsparseL25csrgemm_nnz_block_per_rowILj1024ELj32ELj8192ELj79EliEEvPKT4_S3_PKT3_S3_S6_S3_S6_S3_PS4_21rocsparse_index_base_S8_S8_bb
                                        ; -- End function
	.section	.AMDGPU.csdata,"",@progbits
; Kernel info:
; codeLenInByte = 1816
; NumSgprs: 31
; NumVgprs: 18
; ScratchSize: 0
; MemoryBound: 0
; FloatMode: 240
; IeeeMode: 1
; LDSByteSize: 0 bytes/workgroup (compile time only)
; SGPRBlocks: 3
; VGPRBlocks: 2
; NumSGPRsForWavesPerEU: 31
; NumVGPRsForWavesPerEU: 18
; Occupancy: 16
; WaveLimiterHint : 1
; COMPUTE_PGM_RSRC2:SCRATCH_EN: 0
; COMPUTE_PGM_RSRC2:USER_SGPR: 15
; COMPUTE_PGM_RSRC2:TRAP_HANDLER: 0
; COMPUTE_PGM_RSRC2:TGID_X_EN: 1
; COMPUTE_PGM_RSRC2:TGID_Y_EN: 0
; COMPUTE_PGM_RSRC2:TGID_Z_EN: 0
; COMPUTE_PGM_RSRC2:TIDIG_COMP_CNT: 0
	.section	.text._ZN9rocsparseL25csrgemm_nnz_block_per_rowILj1024ELj32ELj16384ELj79EliEEvPKT4_S3_PKT3_S3_S6_S3_S6_S3_PS4_21rocsparse_index_base_S8_S8_bb,"axG",@progbits,_ZN9rocsparseL25csrgemm_nnz_block_per_rowILj1024ELj32ELj16384ELj79EliEEvPKT4_S3_PKT3_S3_S6_S3_S6_S3_PS4_21rocsparse_index_base_S8_S8_bb,comdat
	.globl	_ZN9rocsparseL25csrgemm_nnz_block_per_rowILj1024ELj32ELj16384ELj79EliEEvPKT4_S3_PKT3_S3_S6_S3_S6_S3_PS4_21rocsparse_index_base_S8_S8_bb ; -- Begin function _ZN9rocsparseL25csrgemm_nnz_block_per_rowILj1024ELj32ELj16384ELj79EliEEvPKT4_S3_PKT3_S3_S6_S3_S6_S3_PS4_21rocsparse_index_base_S8_S8_bb
	.p2align	8
	.type	_ZN9rocsparseL25csrgemm_nnz_block_per_rowILj1024ELj32ELj16384ELj79EliEEvPKT4_S3_PKT3_S3_S6_S3_S6_S3_PS4_21rocsparse_index_base_S8_S8_bb,@function
_ZN9rocsparseL25csrgemm_nnz_block_per_rowILj1024ELj32ELj16384ELj79EliEEvPKT4_S3_PKT3_S3_S6_S3_S6_S3_PS4_21rocsparse_index_base_S8_S8_bb: ; @_ZN9rocsparseL25csrgemm_nnz_block_per_rowILj1024ELj32ELj16384ELj79EliEEvPKT4_S3_PKT3_S3_S6_S3_S6_S3_PS4_21rocsparse_index_base_S8_S8_bb
; %bb.0:
	s_load_b256 s[16:23], s[0:1], 0x0
	s_mov_b32 s3, 0
	v_or_b32_e32 v1, 0xfffffc00, v0
	v_lshl_add_u32 v2, v0, 2, 0
	v_mov_b32_e32 v3, -1
	s_waitcnt lgkmcnt(0)
	s_load_b32 s2, s[16:17], 0x0
	s_load_b64 s[16:17], s[0:1], 0x40
	s_waitcnt lgkmcnt(0)
	s_add_i32 s2, s2, s15
	s_delay_alu instid0(SALU_CYCLE_1) | instskip(NEXT) | instid1(SALU_CYCLE_1)
	s_lshl_b64 s[4:5], s[2:3], 2
	s_add_u32 s12, s18, s4
	s_addc_u32 s13, s19, s5
	s_load_b256 s[4:11], s[0:1], 0x20
	s_load_b32 s18, s[12:13], 0x0
.LBB38_1:                               ; =>This Inner Loop Header: Depth=1
	v_add_nc_u32_e32 v1, 0x400, v1
	ds_store_b32 v2, v3
	v_add_nc_u32_e32 v2, 0x1000, v2
	v_cmp_lt_u32_e32 vcc_lo, 0x3bff, v1
	s_or_b32 s3, vcc_lo, s3
	s_delay_alu instid0(SALU_CYCLE_1)
	s_and_not1_b32 exec_lo, exec_lo, s3
	s_cbranch_execnz .LBB38_1
; %bb.2:
	s_or_b32 exec_lo, exec_lo, s3
	s_load_b128 s[12:15], s[0:1], 0x48
	v_dual_mov_b32 v9, 0 :: v_dual_and_b32 v8, 31, v0
	v_lshrrev_b32_e32 v7, 5, v0
	s_waitcnt lgkmcnt(0)
	s_barrier
	buffer_gl0_inv
	s_bitcmp1_b32 s15, 0
	s_cselect_b32 s2, -1, 0
	s_delay_alu instid0(SALU_CYCLE_1)
	s_and_b32 vcc_lo, exec_lo, s2
	s_cbranch_vccz .LBB38_20
; %bb.3:
	s_ashr_i32 s19, s18, 31
	v_mov_b32_e32 v9, 0
	s_lshl_b64 s[2:3], s[18:19], 3
	s_mov_b32 s15, 0
	s_add_u32 s2, s20, s2
	s_addc_u32 s3, s21, s3
	s_load_b128 s[24:27], s[2:3], 0x0
	v_sub_co_u32 v1, s2, v7, s12
	s_delay_alu instid0(VALU_DEP_1) | instskip(SKIP_2) | instid1(VALU_DEP_2)
	v_sub_co_ci_u32_e64 v2, null, 0, 0, s2
	s_mov_b32 s3, exec_lo
	s_waitcnt lgkmcnt(0)
	v_add_co_u32 v1, vcc_lo, v1, s24
	s_delay_alu instid0(VALU_DEP_2)
	v_add_co_ci_u32_e32 v2, vcc_lo, s25, v2, vcc_lo
	s_sub_u32 s20, s26, s12
	s_subb_u32 s21, s27, 0
	s_delay_alu instid0(VALU_DEP_1) | instid1(SALU_CYCLE_1)
	v_cmpx_gt_i64_e64 s[20:21], v[1:2]
	s_cbranch_execz .LBB38_19
; %bb.4:
	v_sub_co_u32 v10, s2, v8, s13
	v_dual_mov_b32 v9, 0 :: v_dual_mov_b32 v12, -1
	v_sub_co_ci_u32_e64 v11, null, 0, 0, s2
	s_mov_b32 s19, s13
	s_branch .LBB38_7
.LBB38_5:                               ;   in Loop: Header=BB38_7 Depth=1
	s_or_b32 exec_lo, exec_lo, s25
.LBB38_6:                               ;   in Loop: Header=BB38_7 Depth=1
	s_delay_alu instid0(SALU_CYCLE_1) | instskip(SKIP_2) | instid1(VALU_DEP_1)
	s_or_b32 exec_lo, exec_lo, s24
	v_add_co_u32 v1, vcc_lo, v1, 32
	v_add_co_ci_u32_e32 v2, vcc_lo, 0, v2, vcc_lo
	v_cmp_le_i64_e32 vcc_lo, s[20:21], v[1:2]
	s_or_b32 s15, vcc_lo, s15
	s_delay_alu instid0(SALU_CYCLE_1)
	s_and_not1_b32 exec_lo, exec_lo, s15
	s_cbranch_execz .LBB38_18
.LBB38_7:                               ; =>This Loop Header: Depth=1
                                        ;     Child Loop BB38_10 Depth 2
                                        ;       Child Loop BB38_13 Depth 3
	v_lshlrev_b64 v[3:4], 2, v[1:2]
	s_mov_b32 s24, exec_lo
	s_delay_alu instid0(VALU_DEP_1) | instskip(NEXT) | instid1(VALU_DEP_2)
	v_add_co_u32 v3, vcc_lo, s22, v3
	v_add_co_ci_u32_e32 v4, vcc_lo, s23, v4, vcc_lo
	global_load_b32 v3, v[3:4], off
	s_waitcnt vmcnt(0)
	v_subrev_nc_u32_e32 v3, s12, v3
	s_delay_alu instid0(VALU_DEP_1) | instskip(NEXT) | instid1(VALU_DEP_1)
	v_ashrrev_i32_e32 v4, 31, v3
	v_lshlrev_b64 v[3:4], 3, v[3:4]
	s_delay_alu instid0(VALU_DEP_1) | instskip(NEXT) | instid1(VALU_DEP_2)
	v_add_co_u32 v3, vcc_lo, s4, v3
	v_add_co_ci_u32_e32 v4, vcc_lo, s5, v4, vcc_lo
	global_load_b128 v[13:16], v[3:4], off
	s_waitcnt vmcnt(0)
	v_sub_co_u32 v3, vcc_lo, v15, s19
	v_subrev_co_ci_u32_e32 v4, vcc_lo, 0, v16, vcc_lo
	v_add_co_u32 v5, vcc_lo, v10, v13
	v_add_co_ci_u32_e32 v6, vcc_lo, v11, v14, vcc_lo
	s_delay_alu instid0(VALU_DEP_1)
	v_cmpx_lt_i64_e64 v[5:6], v[3:4]
	s_cbranch_execz .LBB38_6
; %bb.8:                                ;   in Loop: Header=BB38_7 Depth=1
	s_mov_b32 s25, 0
	s_branch .LBB38_10
.LBB38_9:                               ;   in Loop: Header=BB38_10 Depth=2
	s_or_b32 exec_lo, exec_lo, s27
	v_add_co_u32 v5, vcc_lo, v5, 32
	v_add_co_ci_u32_e32 v6, vcc_lo, 0, v6, vcc_lo
	v_cndmask_b32_e64 v13, 0, 1, s26
	s_delay_alu instid0(VALU_DEP_2) | instskip(NEXT) | instid1(VALU_DEP_2)
	v_cmp_ge_i64_e32 vcc_lo, v[5:6], v[3:4]
	v_add_nc_u32_e32 v9, v9, v13
	s_or_b32 s25, vcc_lo, s25
	s_delay_alu instid0(SALU_CYCLE_1)
	s_and_not1_b32 exec_lo, exec_lo, s25
	s_cbranch_execz .LBB38_5
.LBB38_10:                              ;   Parent Loop BB38_7 Depth=1
                                        ; =>  This Loop Header: Depth=2
                                        ;       Child Loop BB38_13 Depth 3
	v_lshlrev_b64 v[13:14], 2, v[5:6]
	s_mov_b32 s27, 0
                                        ; implicit-def: $sgpr26
                                        ; implicit-def: $sgpr28
                                        ; implicit-def: $sgpr29
                                        ; implicit-def: $sgpr30
	s_delay_alu instid0(VALU_DEP_1) | instskip(NEXT) | instid1(VALU_DEP_2)
	v_add_co_u32 v13, vcc_lo, s6, v13
	v_add_co_ci_u32_e32 v14, vcc_lo, s7, v14, vcc_lo
	global_load_b32 v13, v[13:14], off
	s_waitcnt vmcnt(0)
	v_subrev_nc_u32_e32 v13, s13, v13
	s_delay_alu instid0(VALU_DEP_1) | instskip(NEXT) | instid1(VALU_DEP_1)
	v_mul_lo_u32 v14, 0x4f, v13
	v_and_b32_e32 v14, 0x3fff, v14
	s_branch .LBB38_13
.LBB38_11:                              ;   in Loop: Header=BB38_13 Depth=3
	s_or_b32 exec_lo, exec_lo, s35
	s_delay_alu instid0(SALU_CYCLE_1)
	s_and_not1_b32 s2, s29, exec_lo
	s_and_b32 s29, s33, exec_lo
	s_and_not1_b32 s28, s28, exec_lo
	s_and_b32 s30, s34, exec_lo
	s_or_b32 s29, s2, s29
	s_or_b32 s28, s28, s30
                                        ; implicit-def: $sgpr30
.LBB38_12:                              ;   in Loop: Header=BB38_13 Depth=3
	s_or_b32 exec_lo, exec_lo, s31
	s_xor_b32 s2, s28, -1
	s_delay_alu instid0(SALU_CYCLE_1) | instskip(NEXT) | instid1(SALU_CYCLE_1)
	s_and_b32 s2, exec_lo, s2
	s_or_b32 s27, s2, s27
	s_and_not1_b32 s2, s30, exec_lo
	s_and_b32 s31, s29, exec_lo
	s_and_not1_b32 s26, s26, exec_lo
	s_or_b32 s30, s2, s31
	s_or_b32 s26, s26, s31
	s_and_not1_b32 exec_lo, exec_lo, s27
	s_cbranch_execz .LBB38_9
.LBB38_13:                              ;   Parent Loop BB38_7 Depth=1
                                        ;     Parent Loop BB38_10 Depth=2
                                        ; =>    This Inner Loop Header: Depth=3
	s_delay_alu instid0(VALU_DEP_1)
	v_lshl_add_u32 v15, v14, 2, 0
	s_and_not1_b32 s29, s29, exec_lo
	s_and_not1_b32 s28, s28, exec_lo
	s_mov_b32 s31, exec_lo
	ds_load_b32 v16, v15
	s_waitcnt lgkmcnt(0)
	v_cmpx_ne_u32_e64 v16, v13
	s_cbranch_execz .LBB38_12
; %bb.14:                               ;   in Loop: Header=BB38_13 Depth=3
	s_mov_b32 s2, exec_lo
                                        ; implicit-def: $sgpr33
                                        ; implicit-def: $sgpr34
	v_cmpx_ne_u32_e32 -1, v16
	s_xor_b32 s2, exec_lo, s2
; %bb.15:                               ;   in Loop: Header=BB38_13 Depth=3
	v_add_nc_u32_e32 v14, 1, v14
	s_mov_b32 s34, -1
	s_and_b32 s33, s30, exec_lo
                                        ; implicit-def: $vgpr15
	s_delay_alu instid0(VALU_DEP_1)
	v_and_b32_e32 v14, 0x3fff, v14
; %bb.16:                               ;   in Loop: Header=BB38_13 Depth=3
	s_and_not1_saveexec_b32 s35, s2
	s_cbranch_execz .LBB38_11
; %bb.17:                               ;   in Loop: Header=BB38_13 Depth=3
	ds_cmpstore_rtn_b32 v15, v15, v13, v12
	s_and_not1_b32 s34, s34, exec_lo
	s_and_not1_b32 s33, s33, exec_lo
	s_waitcnt lgkmcnt(0)
	v_cmp_eq_u32_e32 vcc_lo, -1, v15
	v_cmp_ne_u32_e64 s2, -1, v15
	s_or_b32 s30, vcc_lo, s30
	s_delay_alu instid0(VALU_DEP_1)
	s_and_b32 s2, s2, exec_lo
	s_and_b32 s30, s30, exec_lo
	s_or_b32 s34, s34, s2
	s_or_b32 s33, s33, s30
	s_branch .LBB38_11
.LBB38_18:
	s_or_b32 exec_lo, exec_lo, s15
.LBB38_19:
	s_delay_alu instid0(SALU_CYCLE_1)
	s_or_b32 exec_lo, exec_lo, s3
.LBB38_20:
	s_load_b32 s0, s[0:1], 0x54
	s_waitcnt lgkmcnt(0)
	s_bfe_u32 s0, s0, 0x10008
	s_delay_alu instid0(SALU_CYCLE_1)
	s_cmp_eq_u32 s0, 0
	s_cbranch_scc1 .LBB38_34
; %bb.21:
	s_ashr_i32 s19, s18, 31
	v_sub_co_u32 v1, s4, v7, s14
	s_lshl_b64 s[0:1], s[18:19], 3
	v_sub_co_ci_u32_e64 v2, null, 0, 0, s4
	s_add_u32 s0, s8, s0
	s_addc_u32 s1, s9, s1
	s_load_b128 s[0:3], s[0:1], 0x0
	s_waitcnt lgkmcnt(0)
	v_add_co_u32 v1, vcc_lo, v1, s0
	v_add_co_ci_u32_e32 v2, vcc_lo, s1, v2, vcc_lo
	s_sub_u32 s2, s2, s14
	s_subb_u32 s3, s3, 0
	s_mov_b32 s1, exec_lo
	s_delay_alu instid0(VALU_DEP_1)
	v_cmpx_gt_i64_e64 s[2:3], v[1:2]
	s_cbranch_execz .LBB38_33
; %bb.22:
	v_mov_b32_e32 v3, -1
	s_mov_b32 s4, 0
	s_branch .LBB38_24
.LBB38_23:                              ;   in Loop: Header=BB38_24 Depth=1
	s_or_b32 exec_lo, exec_lo, s6
	v_add_co_u32 v1, vcc_lo, v1, 32
	v_add_co_ci_u32_e32 v2, vcc_lo, 0, v2, vcc_lo
	v_cndmask_b32_e64 v4, 0, 1, s5
	s_delay_alu instid0(VALU_DEP_2) | instskip(NEXT) | instid1(VALU_DEP_2)
	v_cmp_le_i64_e32 vcc_lo, s[2:3], v[1:2]
	v_add_nc_u32_e32 v9, v9, v4
	s_or_b32 s4, vcc_lo, s4
	s_delay_alu instid0(SALU_CYCLE_1)
	s_and_not1_b32 exec_lo, exec_lo, s4
	s_cbranch_execz .LBB38_32
.LBB38_24:                              ; =>This Loop Header: Depth=1
                                        ;     Child Loop BB38_27 Depth 2
	v_lshlrev_b64 v[4:5], 2, v[1:2]
	s_mov_b32 s6, 0
                                        ; implicit-def: $sgpr5
                                        ; implicit-def: $sgpr7
                                        ; implicit-def: $sgpr8
                                        ; implicit-def: $sgpr9
	s_delay_alu instid0(VALU_DEP_1) | instskip(NEXT) | instid1(VALU_DEP_2)
	v_add_co_u32 v4, vcc_lo, s10, v4
	v_add_co_ci_u32_e32 v5, vcc_lo, s11, v5, vcc_lo
	global_load_b32 v4, v[4:5], off
	s_waitcnt vmcnt(0)
	v_subrev_nc_u32_e32 v4, s14, v4
	s_delay_alu instid0(VALU_DEP_1) | instskip(NEXT) | instid1(VALU_DEP_1)
	v_mul_lo_u32 v5, 0x4f, v4
	v_and_b32_e32 v5, 0x3fff, v5
	s_branch .LBB38_27
.LBB38_25:                              ;   in Loop: Header=BB38_27 Depth=2
	s_or_b32 exec_lo, exec_lo, s19
	s_delay_alu instid0(SALU_CYCLE_1)
	s_and_not1_b32 s0, s8, exec_lo
	s_and_b32 s8, s13, exec_lo
	s_and_not1_b32 s7, s7, exec_lo
	s_and_b32 s9, s15, exec_lo
	s_or_b32 s8, s0, s8
	s_or_b32 s7, s7, s9
                                        ; implicit-def: $sgpr9
.LBB38_26:                              ;   in Loop: Header=BB38_27 Depth=2
	s_or_b32 exec_lo, exec_lo, s12
	s_xor_b32 s0, s7, -1
	s_delay_alu instid0(SALU_CYCLE_1) | instskip(NEXT) | instid1(SALU_CYCLE_1)
	s_and_b32 s0, exec_lo, s0
	s_or_b32 s6, s0, s6
	s_and_not1_b32 s0, s9, exec_lo
	s_and_b32 s12, s8, exec_lo
	s_and_not1_b32 s5, s5, exec_lo
	s_or_b32 s9, s0, s12
	s_or_b32 s5, s5, s12
	s_and_not1_b32 exec_lo, exec_lo, s6
	s_cbranch_execz .LBB38_23
.LBB38_27:                              ;   Parent Loop BB38_24 Depth=1
                                        ; =>  This Inner Loop Header: Depth=2
	s_delay_alu instid0(VALU_DEP_1)
	v_lshl_add_u32 v6, v5, 2, 0
	s_and_not1_b32 s8, s8, exec_lo
	s_and_not1_b32 s7, s7, exec_lo
	s_mov_b32 s12, exec_lo
	ds_load_b32 v10, v6
	s_waitcnt lgkmcnt(0)
	v_cmpx_ne_u32_e64 v10, v4
	s_cbranch_execz .LBB38_26
; %bb.28:                               ;   in Loop: Header=BB38_27 Depth=2
	s_mov_b32 s0, exec_lo
                                        ; implicit-def: $sgpr13
                                        ; implicit-def: $sgpr15
	v_cmpx_ne_u32_e32 -1, v10
	s_xor_b32 s0, exec_lo, s0
; %bb.29:                               ;   in Loop: Header=BB38_27 Depth=2
	v_add_nc_u32_e32 v5, 1, v5
	s_mov_b32 s15, -1
	s_and_b32 s13, s9, exec_lo
                                        ; implicit-def: $vgpr6
	s_delay_alu instid0(VALU_DEP_1)
	v_and_b32_e32 v5, 0x3fff, v5
; %bb.30:                               ;   in Loop: Header=BB38_27 Depth=2
	s_and_not1_saveexec_b32 s19, s0
	s_cbranch_execz .LBB38_25
; %bb.31:                               ;   in Loop: Header=BB38_27 Depth=2
	ds_cmpstore_rtn_b32 v6, v6, v4, v3
	s_and_not1_b32 s15, s15, exec_lo
	s_and_not1_b32 s13, s13, exec_lo
	s_waitcnt lgkmcnt(0)
	v_cmp_eq_u32_e32 vcc_lo, -1, v6
	v_cmp_ne_u32_e64 s0, -1, v6
	s_or_b32 s9, vcc_lo, s9
	s_delay_alu instid0(VALU_DEP_1)
	s_and_b32 s0, s0, exec_lo
	s_and_b32 s9, s9, exec_lo
	s_or_b32 s15, s15, s0
	s_or_b32 s13, s13, s9
	s_branch .LBB38_25
.LBB38_32:
	s_or_b32 exec_lo, exec_lo, s4
.LBB38_33:
	s_delay_alu instid0(SALU_CYCLE_1)
	s_or_b32 exec_lo, exec_lo, s1
.LBB38_34:
	v_mbcnt_lo_u32_b32 v5, -1, 0
	s_mov_b32 s0, exec_lo
	s_barrier
	buffer_gl0_inv
	v_xor_b32_e32 v1, 16, v5
	v_xor_b32_e32 v2, 8, v5
	;; [unrolled: 1-line block ×3, first 2 shown]
	s_delay_alu instid0(VALU_DEP_3) | instskip(SKIP_1) | instid1(VALU_DEP_4)
	v_cmp_gt_i32_e32 vcc_lo, 32, v1
	v_cndmask_b32_e32 v1, v5, v1, vcc_lo
	v_cmp_gt_i32_e32 vcc_lo, 32, v2
	v_cndmask_b32_e32 v2, v5, v2, vcc_lo
	s_delay_alu instid0(VALU_DEP_1) | instskip(NEXT) | instid1(VALU_DEP_4)
	v_lshlrev_b32_e32 v2, 2, v2
	v_lshlrev_b32_e32 v1, 2, v1
	ds_bpermute_b32 v3, v1, v9
	s_waitcnt lgkmcnt(0)
	v_add_nc_u32_e32 v4, v3, v9
	v_xor_b32_e32 v3, 4, v5
	s_delay_alu instid0(VALU_DEP_1)
	v_cmp_gt_i32_e32 vcc_lo, 32, v3
	v_cndmask_b32_e32 v3, v5, v3, vcc_lo
	ds_bpermute_b32 v6, v2, v4
	v_lshlrev_b32_e32 v3, 2, v3
	s_waitcnt lgkmcnt(0)
	v_add_nc_u32_e32 v6, v6, v4
	v_xor_b32_e32 v4, 2, v5
	s_delay_alu instid0(VALU_DEP_1) | instskip(SKIP_2) | instid1(VALU_DEP_2)
	v_cmp_gt_i32_e32 vcc_lo, 32, v4
	v_cndmask_b32_e32 v4, v5, v4, vcc_lo
	v_cmp_gt_i32_e32 vcc_lo, 32, v10
	v_dual_cndmask_b32 v5, v5, v10 :: v_dual_lshlrev_b32 v4, 2, v4
	ds_bpermute_b32 v9, v3, v6
	v_lshlrev_b32_e32 v5, 2, v5
	s_waitcnt lgkmcnt(0)
	v_add_nc_u32_e32 v6, v9, v6
	ds_bpermute_b32 v9, v4, v6
	s_waitcnt lgkmcnt(0)
	v_add_nc_u32_e32 v6, v9, v6
	ds_bpermute_b32 v9, v5, v6
	v_cmpx_eq_u32_e32 31, v8
	s_cbranch_execz .LBB38_36
; %bb.35:
	v_lshl_add_u32 v7, v7, 2, 0
	s_waitcnt lgkmcnt(0)
	v_add_nc_u32_e32 v6, v9, v6
	ds_store_b32 v7, v6
.LBB38_36:
	s_or_b32 exec_lo, exec_lo, s0
	v_mov_b32_e32 v6, 0
	s_mov_b32 s0, exec_lo
	s_waitcnt lgkmcnt(0)
	s_barrier
	buffer_gl0_inv
	v_cmpx_gt_u32_e32 32, v0
	s_cbranch_execz .LBB38_38
; %bb.37:
	v_lshl_add_u32 v6, v0, 2, 0
	ds_load_b32 v6, v6
.LBB38_38:
	s_or_b32 exec_lo, exec_lo, s0
	s_waitcnt lgkmcnt(0)
	ds_bpermute_b32 v1, v1, v6
	s_mov_b32 s0, exec_lo
	s_waitcnt lgkmcnt(0)
	v_add_nc_u32_e32 v1, v1, v6
	ds_bpermute_b32 v2, v2, v1
	s_waitcnt lgkmcnt(0)
	v_add_nc_u32_e32 v1, v2, v1
	ds_bpermute_b32 v2, v3, v1
	;; [unrolled: 3-line block ×4, first 2 shown]
	v_cmpx_eq_u32_e32 31, v0
	s_cbranch_execz .LBB38_40
; %bb.39:
	s_waitcnt lgkmcnt(0)
	v_add_nc_u32_e32 v0, v2, v1
	s_ashr_i32 s19, s18, 31
	v_mov_b32_e32 v2, 0
	s_lshl_b64 s[0:1], s[18:19], 3
	s_delay_alu instid0(SALU_CYCLE_1)
	s_add_u32 s0, s16, s0
	v_ashrrev_i32_e32 v1, 31, v0
	s_addc_u32 s1, s17, s1
	global_store_b64 v2, v[0:1], s[0:1]
.LBB38_40:
	s_nop 0
	s_sendmsg sendmsg(MSG_DEALLOC_VGPRS)
	s_endpgm
	.section	.rodata,"a",@progbits
	.p2align	6, 0x0
	.amdhsa_kernel _ZN9rocsparseL25csrgemm_nnz_block_per_rowILj1024ELj32ELj16384ELj79EliEEvPKT4_S3_PKT3_S3_S6_S3_S6_S3_PS4_21rocsparse_index_base_S8_S8_bb
		.amdhsa_group_segment_fixed_size 0
		.amdhsa_private_segment_fixed_size 0
		.amdhsa_kernarg_size 88
		.amdhsa_user_sgpr_count 15
		.amdhsa_user_sgpr_dispatch_ptr 0
		.amdhsa_user_sgpr_queue_ptr 0
		.amdhsa_user_sgpr_kernarg_segment_ptr 1
		.amdhsa_user_sgpr_dispatch_id 0
		.amdhsa_user_sgpr_private_segment_size 0
		.amdhsa_wavefront_size32 1
		.amdhsa_uses_dynamic_stack 0
		.amdhsa_enable_private_segment 0
		.amdhsa_system_sgpr_workgroup_id_x 1
		.amdhsa_system_sgpr_workgroup_id_y 0
		.amdhsa_system_sgpr_workgroup_id_z 0
		.amdhsa_system_sgpr_workgroup_info 0
		.amdhsa_system_vgpr_workitem_id 0
		.amdhsa_next_free_vgpr 17
		.amdhsa_next_free_sgpr 36
		.amdhsa_reserve_vcc 1
		.amdhsa_float_round_mode_32 0
		.amdhsa_float_round_mode_16_64 0
		.amdhsa_float_denorm_mode_32 3
		.amdhsa_float_denorm_mode_16_64 3
		.amdhsa_dx10_clamp 1
		.amdhsa_ieee_mode 1
		.amdhsa_fp16_overflow 0
		.amdhsa_workgroup_processor_mode 1
		.amdhsa_memory_ordered 1
		.amdhsa_forward_progress 0
		.amdhsa_shared_vgpr_count 0
		.amdhsa_exception_fp_ieee_invalid_op 0
		.amdhsa_exception_fp_denorm_src 0
		.amdhsa_exception_fp_ieee_div_zero 0
		.amdhsa_exception_fp_ieee_overflow 0
		.amdhsa_exception_fp_ieee_underflow 0
		.amdhsa_exception_fp_ieee_inexact 0
		.amdhsa_exception_int_div_zero 0
	.end_amdhsa_kernel
	.section	.text._ZN9rocsparseL25csrgemm_nnz_block_per_rowILj1024ELj32ELj16384ELj79EliEEvPKT4_S3_PKT3_S3_S6_S3_S6_S3_PS4_21rocsparse_index_base_S8_S8_bb,"axG",@progbits,_ZN9rocsparseL25csrgemm_nnz_block_per_rowILj1024ELj32ELj16384ELj79EliEEvPKT4_S3_PKT3_S3_S6_S3_S6_S3_PS4_21rocsparse_index_base_S8_S8_bb,comdat
.Lfunc_end38:
	.size	_ZN9rocsparseL25csrgemm_nnz_block_per_rowILj1024ELj32ELj16384ELj79EliEEvPKT4_S3_PKT3_S3_S6_S3_S6_S3_PS4_21rocsparse_index_base_S8_S8_bb, .Lfunc_end38-_ZN9rocsparseL25csrgemm_nnz_block_per_rowILj1024ELj32ELj16384ELj79EliEEvPKT4_S3_PKT3_S3_S6_S3_S6_S3_PS4_21rocsparse_index_base_S8_S8_bb
                                        ; -- End function
	.section	.AMDGPU.csdata,"",@progbits
; Kernel info:
; codeLenInByte = 1800
; NumSgprs: 38
; NumVgprs: 17
; ScratchSize: 0
; MemoryBound: 0
; FloatMode: 240
; IeeeMode: 1
; LDSByteSize: 0 bytes/workgroup (compile time only)
; SGPRBlocks: 4
; VGPRBlocks: 2
; NumSGPRsForWavesPerEU: 38
; NumVGPRsForWavesPerEU: 17
; Occupancy: 16
; WaveLimiterHint : 1
; COMPUTE_PGM_RSRC2:SCRATCH_EN: 0
; COMPUTE_PGM_RSRC2:USER_SGPR: 15
; COMPUTE_PGM_RSRC2:TRAP_HANDLER: 0
; COMPUTE_PGM_RSRC2:TGID_X_EN: 1
; COMPUTE_PGM_RSRC2:TGID_Y_EN: 0
; COMPUTE_PGM_RSRC2:TGID_Z_EN: 0
; COMPUTE_PGM_RSRC2:TIDIG_COMP_CNT: 0
	.section	.text._ZN9rocsparseL25csrgemm_nnz_block_per_rowILj1024ELj32ELj32768ELj79EliEEvPKT4_S3_PKT3_S3_S6_S3_S6_S3_PS4_21rocsparse_index_base_S8_S8_bb,"axG",@progbits,_ZN9rocsparseL25csrgemm_nnz_block_per_rowILj1024ELj32ELj32768ELj79EliEEvPKT4_S3_PKT3_S3_S6_S3_S6_S3_PS4_21rocsparse_index_base_S8_S8_bb,comdat
	.globl	_ZN9rocsparseL25csrgemm_nnz_block_per_rowILj1024ELj32ELj32768ELj79EliEEvPKT4_S3_PKT3_S3_S6_S3_S6_S3_PS4_21rocsparse_index_base_S8_S8_bb ; -- Begin function _ZN9rocsparseL25csrgemm_nnz_block_per_rowILj1024ELj32ELj32768ELj79EliEEvPKT4_S3_PKT3_S3_S6_S3_S6_S3_PS4_21rocsparse_index_base_S8_S8_bb
	.p2align	8
	.type	_ZN9rocsparseL25csrgemm_nnz_block_per_rowILj1024ELj32ELj32768ELj79EliEEvPKT4_S3_PKT3_S3_S6_S3_S6_S3_PS4_21rocsparse_index_base_S8_S8_bb,@function
_ZN9rocsparseL25csrgemm_nnz_block_per_rowILj1024ELj32ELj32768ELj79EliEEvPKT4_S3_PKT3_S3_S6_S3_S6_S3_PS4_21rocsparse_index_base_S8_S8_bb: ; @_ZN9rocsparseL25csrgemm_nnz_block_per_rowILj1024ELj32ELj32768ELj79EliEEvPKT4_S3_PKT3_S3_S6_S3_S6_S3_PS4_21rocsparse_index_base_S8_S8_bb
; %bb.0:
	s_load_b256 s[16:23], s[0:1], 0x0
	s_mov_b32 s3, 0
	v_or_b32_e32 v1, 0xfffffc00, v0
	v_lshl_add_u32 v2, v0, 2, 0
	v_mov_b32_e32 v3, -1
	s_waitcnt lgkmcnt(0)
	s_load_b32 s2, s[16:17], 0x0
	s_load_b64 s[16:17], s[0:1], 0x40
	s_waitcnt lgkmcnt(0)
	s_add_i32 s2, s2, s15
	s_delay_alu instid0(SALU_CYCLE_1) | instskip(NEXT) | instid1(SALU_CYCLE_1)
	s_lshl_b64 s[4:5], s[2:3], 2
	s_add_u32 s12, s18, s4
	s_addc_u32 s13, s19, s5
	s_load_b256 s[4:11], s[0:1], 0x20
	s_load_b32 s18, s[12:13], 0x0
.LBB39_1:                               ; =>This Inner Loop Header: Depth=1
	v_add_nc_u32_e32 v1, 0x400, v1
	ds_store_b32 v2, v3
	v_add_nc_u32_e32 v2, 0x1000, v2
	v_cmp_lt_u32_e32 vcc_lo, 0x7bff, v1
	s_or_b32 s3, vcc_lo, s3
	s_delay_alu instid0(SALU_CYCLE_1)
	s_and_not1_b32 exec_lo, exec_lo, s3
	s_cbranch_execnz .LBB39_1
; %bb.2:
	s_or_b32 exec_lo, exec_lo, s3
	s_load_b128 s[12:15], s[0:1], 0x48
	v_dual_mov_b32 v9, 0 :: v_dual_and_b32 v8, 31, v0
	v_lshrrev_b32_e32 v7, 5, v0
	s_waitcnt lgkmcnt(0)
	s_barrier
	buffer_gl0_inv
	s_bitcmp1_b32 s15, 0
	s_cselect_b32 s2, -1, 0
	s_delay_alu instid0(SALU_CYCLE_1)
	s_and_b32 vcc_lo, exec_lo, s2
	s_cbranch_vccz .LBB39_20
; %bb.3:
	s_ashr_i32 s19, s18, 31
	v_mov_b32_e32 v9, 0
	s_lshl_b64 s[2:3], s[18:19], 3
	s_mov_b32 s15, 0
	s_add_u32 s2, s20, s2
	s_addc_u32 s3, s21, s3
	s_load_b128 s[24:27], s[2:3], 0x0
	v_sub_co_u32 v1, s2, v7, s12
	s_delay_alu instid0(VALU_DEP_1) | instskip(SKIP_2) | instid1(VALU_DEP_2)
	v_sub_co_ci_u32_e64 v2, null, 0, 0, s2
	s_mov_b32 s3, exec_lo
	s_waitcnt lgkmcnt(0)
	v_add_co_u32 v1, vcc_lo, v1, s24
	s_delay_alu instid0(VALU_DEP_2)
	v_add_co_ci_u32_e32 v2, vcc_lo, s25, v2, vcc_lo
	s_sub_u32 s20, s26, s12
	s_subb_u32 s21, s27, 0
	s_delay_alu instid0(VALU_DEP_1) | instid1(SALU_CYCLE_1)
	v_cmpx_gt_i64_e64 s[20:21], v[1:2]
	s_cbranch_execz .LBB39_19
; %bb.4:
	v_sub_co_u32 v10, s2, v8, s13
	v_dual_mov_b32 v9, 0 :: v_dual_mov_b32 v12, -1
	v_sub_co_ci_u32_e64 v11, null, 0, 0, s2
	s_mov_b32 s19, s13
	s_branch .LBB39_7
.LBB39_5:                               ;   in Loop: Header=BB39_7 Depth=1
	s_or_b32 exec_lo, exec_lo, s25
.LBB39_6:                               ;   in Loop: Header=BB39_7 Depth=1
	s_delay_alu instid0(SALU_CYCLE_1) | instskip(SKIP_2) | instid1(VALU_DEP_1)
	s_or_b32 exec_lo, exec_lo, s24
	v_add_co_u32 v1, vcc_lo, v1, 32
	v_add_co_ci_u32_e32 v2, vcc_lo, 0, v2, vcc_lo
	v_cmp_le_i64_e32 vcc_lo, s[20:21], v[1:2]
	s_or_b32 s15, vcc_lo, s15
	s_delay_alu instid0(SALU_CYCLE_1)
	s_and_not1_b32 exec_lo, exec_lo, s15
	s_cbranch_execz .LBB39_18
.LBB39_7:                               ; =>This Loop Header: Depth=1
                                        ;     Child Loop BB39_10 Depth 2
                                        ;       Child Loop BB39_13 Depth 3
	v_lshlrev_b64 v[3:4], 2, v[1:2]
	s_mov_b32 s24, exec_lo
	s_delay_alu instid0(VALU_DEP_1) | instskip(NEXT) | instid1(VALU_DEP_2)
	v_add_co_u32 v3, vcc_lo, s22, v3
	v_add_co_ci_u32_e32 v4, vcc_lo, s23, v4, vcc_lo
	global_load_b32 v3, v[3:4], off
	s_waitcnt vmcnt(0)
	v_subrev_nc_u32_e32 v3, s12, v3
	s_delay_alu instid0(VALU_DEP_1) | instskip(NEXT) | instid1(VALU_DEP_1)
	v_ashrrev_i32_e32 v4, 31, v3
	v_lshlrev_b64 v[3:4], 3, v[3:4]
	s_delay_alu instid0(VALU_DEP_1) | instskip(NEXT) | instid1(VALU_DEP_2)
	v_add_co_u32 v3, vcc_lo, s4, v3
	v_add_co_ci_u32_e32 v4, vcc_lo, s5, v4, vcc_lo
	global_load_b128 v[13:16], v[3:4], off
	s_waitcnt vmcnt(0)
	v_sub_co_u32 v3, vcc_lo, v15, s19
	v_subrev_co_ci_u32_e32 v4, vcc_lo, 0, v16, vcc_lo
	v_add_co_u32 v5, vcc_lo, v10, v13
	v_add_co_ci_u32_e32 v6, vcc_lo, v11, v14, vcc_lo
	s_delay_alu instid0(VALU_DEP_1)
	v_cmpx_lt_i64_e64 v[5:6], v[3:4]
	s_cbranch_execz .LBB39_6
; %bb.8:                                ;   in Loop: Header=BB39_7 Depth=1
	s_mov_b32 s25, 0
	s_branch .LBB39_10
.LBB39_9:                               ;   in Loop: Header=BB39_10 Depth=2
	s_or_b32 exec_lo, exec_lo, s27
	v_add_co_u32 v5, vcc_lo, v5, 32
	v_add_co_ci_u32_e32 v6, vcc_lo, 0, v6, vcc_lo
	v_cndmask_b32_e64 v13, 0, 1, s26
	s_delay_alu instid0(VALU_DEP_2) | instskip(NEXT) | instid1(VALU_DEP_2)
	v_cmp_ge_i64_e32 vcc_lo, v[5:6], v[3:4]
	v_add_nc_u32_e32 v9, v9, v13
	s_or_b32 s25, vcc_lo, s25
	s_delay_alu instid0(SALU_CYCLE_1)
	s_and_not1_b32 exec_lo, exec_lo, s25
	s_cbranch_execz .LBB39_5
.LBB39_10:                              ;   Parent Loop BB39_7 Depth=1
                                        ; =>  This Loop Header: Depth=2
                                        ;       Child Loop BB39_13 Depth 3
	v_lshlrev_b64 v[13:14], 2, v[5:6]
	s_mov_b32 s27, 0
                                        ; implicit-def: $sgpr26
                                        ; implicit-def: $sgpr28
                                        ; implicit-def: $sgpr29
                                        ; implicit-def: $sgpr30
	s_delay_alu instid0(VALU_DEP_1) | instskip(NEXT) | instid1(VALU_DEP_2)
	v_add_co_u32 v13, vcc_lo, s6, v13
	v_add_co_ci_u32_e32 v14, vcc_lo, s7, v14, vcc_lo
	global_load_b32 v13, v[13:14], off
	s_waitcnt vmcnt(0)
	v_subrev_nc_u32_e32 v13, s13, v13
	s_delay_alu instid0(VALU_DEP_1) | instskip(NEXT) | instid1(VALU_DEP_1)
	v_mul_lo_u32 v14, 0x4f, v13
	v_and_b32_e32 v14, 0x7fff, v14
	s_branch .LBB39_13
.LBB39_11:                              ;   in Loop: Header=BB39_13 Depth=3
	s_or_b32 exec_lo, exec_lo, s35
	s_delay_alu instid0(SALU_CYCLE_1)
	s_and_not1_b32 s2, s29, exec_lo
	s_and_b32 s29, s33, exec_lo
	s_and_not1_b32 s28, s28, exec_lo
	s_and_b32 s30, s34, exec_lo
	s_or_b32 s29, s2, s29
	s_or_b32 s28, s28, s30
                                        ; implicit-def: $sgpr30
.LBB39_12:                              ;   in Loop: Header=BB39_13 Depth=3
	s_or_b32 exec_lo, exec_lo, s31
	s_xor_b32 s2, s28, -1
	s_delay_alu instid0(SALU_CYCLE_1) | instskip(NEXT) | instid1(SALU_CYCLE_1)
	s_and_b32 s2, exec_lo, s2
	s_or_b32 s27, s2, s27
	s_and_not1_b32 s2, s30, exec_lo
	s_and_b32 s31, s29, exec_lo
	s_and_not1_b32 s26, s26, exec_lo
	s_or_b32 s30, s2, s31
	s_or_b32 s26, s26, s31
	s_and_not1_b32 exec_lo, exec_lo, s27
	s_cbranch_execz .LBB39_9
.LBB39_13:                              ;   Parent Loop BB39_7 Depth=1
                                        ;     Parent Loop BB39_10 Depth=2
                                        ; =>    This Inner Loop Header: Depth=3
	s_delay_alu instid0(VALU_DEP_1)
	v_lshl_add_u32 v15, v14, 2, 0
	s_and_not1_b32 s29, s29, exec_lo
	s_and_not1_b32 s28, s28, exec_lo
	s_mov_b32 s31, exec_lo
	ds_load_b32 v16, v15
	s_waitcnt lgkmcnt(0)
	v_cmpx_ne_u32_e64 v16, v13
	s_cbranch_execz .LBB39_12
; %bb.14:                               ;   in Loop: Header=BB39_13 Depth=3
	s_mov_b32 s2, exec_lo
                                        ; implicit-def: $sgpr33
                                        ; implicit-def: $sgpr34
	v_cmpx_ne_u32_e32 -1, v16
	s_xor_b32 s2, exec_lo, s2
; %bb.15:                               ;   in Loop: Header=BB39_13 Depth=3
	v_add_nc_u32_e32 v14, 1, v14
	s_mov_b32 s34, -1
	s_and_b32 s33, s30, exec_lo
                                        ; implicit-def: $vgpr15
	s_delay_alu instid0(VALU_DEP_1)
	v_and_b32_e32 v14, 0x7fff, v14
; %bb.16:                               ;   in Loop: Header=BB39_13 Depth=3
	s_and_not1_saveexec_b32 s35, s2
	s_cbranch_execz .LBB39_11
; %bb.17:                               ;   in Loop: Header=BB39_13 Depth=3
	ds_cmpstore_rtn_b32 v15, v15, v13, v12
	s_and_not1_b32 s34, s34, exec_lo
	s_and_not1_b32 s33, s33, exec_lo
	s_waitcnt lgkmcnt(0)
	v_cmp_eq_u32_e32 vcc_lo, -1, v15
	v_cmp_ne_u32_e64 s2, -1, v15
	s_or_b32 s30, vcc_lo, s30
	s_delay_alu instid0(VALU_DEP_1)
	s_and_b32 s2, s2, exec_lo
	s_and_b32 s30, s30, exec_lo
	s_or_b32 s34, s34, s2
	s_or_b32 s33, s33, s30
	s_branch .LBB39_11
.LBB39_18:
	s_or_b32 exec_lo, exec_lo, s15
.LBB39_19:
	s_delay_alu instid0(SALU_CYCLE_1)
	s_or_b32 exec_lo, exec_lo, s3
.LBB39_20:
	s_load_b32 s0, s[0:1], 0x54
	s_waitcnt lgkmcnt(0)
	s_bfe_u32 s0, s0, 0x10008
	s_delay_alu instid0(SALU_CYCLE_1)
	s_cmp_eq_u32 s0, 0
	s_cbranch_scc1 .LBB39_34
; %bb.21:
	s_ashr_i32 s19, s18, 31
	v_sub_co_u32 v1, s4, v7, s14
	s_lshl_b64 s[0:1], s[18:19], 3
	v_sub_co_ci_u32_e64 v2, null, 0, 0, s4
	s_add_u32 s0, s8, s0
	s_addc_u32 s1, s9, s1
	s_load_b128 s[0:3], s[0:1], 0x0
	s_waitcnt lgkmcnt(0)
	v_add_co_u32 v1, vcc_lo, v1, s0
	v_add_co_ci_u32_e32 v2, vcc_lo, s1, v2, vcc_lo
	s_sub_u32 s2, s2, s14
	s_subb_u32 s3, s3, 0
	s_mov_b32 s1, exec_lo
	s_delay_alu instid0(VALU_DEP_1)
	v_cmpx_gt_i64_e64 s[2:3], v[1:2]
	s_cbranch_execz .LBB39_33
; %bb.22:
	v_mov_b32_e32 v3, -1
	s_mov_b32 s4, 0
	s_branch .LBB39_24
.LBB39_23:                              ;   in Loop: Header=BB39_24 Depth=1
	s_or_b32 exec_lo, exec_lo, s6
	v_add_co_u32 v1, vcc_lo, v1, 32
	v_add_co_ci_u32_e32 v2, vcc_lo, 0, v2, vcc_lo
	v_cndmask_b32_e64 v4, 0, 1, s5
	s_delay_alu instid0(VALU_DEP_2) | instskip(NEXT) | instid1(VALU_DEP_2)
	v_cmp_le_i64_e32 vcc_lo, s[2:3], v[1:2]
	v_add_nc_u32_e32 v9, v9, v4
	s_or_b32 s4, vcc_lo, s4
	s_delay_alu instid0(SALU_CYCLE_1)
	s_and_not1_b32 exec_lo, exec_lo, s4
	s_cbranch_execz .LBB39_32
.LBB39_24:                              ; =>This Loop Header: Depth=1
                                        ;     Child Loop BB39_27 Depth 2
	v_lshlrev_b64 v[4:5], 2, v[1:2]
	s_mov_b32 s6, 0
                                        ; implicit-def: $sgpr5
                                        ; implicit-def: $sgpr7
                                        ; implicit-def: $sgpr8
                                        ; implicit-def: $sgpr9
	s_delay_alu instid0(VALU_DEP_1) | instskip(NEXT) | instid1(VALU_DEP_2)
	v_add_co_u32 v4, vcc_lo, s10, v4
	v_add_co_ci_u32_e32 v5, vcc_lo, s11, v5, vcc_lo
	global_load_b32 v4, v[4:5], off
	s_waitcnt vmcnt(0)
	v_subrev_nc_u32_e32 v4, s14, v4
	s_delay_alu instid0(VALU_DEP_1) | instskip(NEXT) | instid1(VALU_DEP_1)
	v_mul_lo_u32 v5, 0x4f, v4
	v_and_b32_e32 v5, 0x7fff, v5
	s_branch .LBB39_27
.LBB39_25:                              ;   in Loop: Header=BB39_27 Depth=2
	s_or_b32 exec_lo, exec_lo, s19
	s_delay_alu instid0(SALU_CYCLE_1)
	s_and_not1_b32 s0, s8, exec_lo
	s_and_b32 s8, s13, exec_lo
	s_and_not1_b32 s7, s7, exec_lo
	s_and_b32 s9, s15, exec_lo
	s_or_b32 s8, s0, s8
	s_or_b32 s7, s7, s9
                                        ; implicit-def: $sgpr9
.LBB39_26:                              ;   in Loop: Header=BB39_27 Depth=2
	s_or_b32 exec_lo, exec_lo, s12
	s_xor_b32 s0, s7, -1
	s_delay_alu instid0(SALU_CYCLE_1) | instskip(NEXT) | instid1(SALU_CYCLE_1)
	s_and_b32 s0, exec_lo, s0
	s_or_b32 s6, s0, s6
	s_and_not1_b32 s0, s9, exec_lo
	s_and_b32 s12, s8, exec_lo
	s_and_not1_b32 s5, s5, exec_lo
	s_or_b32 s9, s0, s12
	s_or_b32 s5, s5, s12
	s_and_not1_b32 exec_lo, exec_lo, s6
	s_cbranch_execz .LBB39_23
.LBB39_27:                              ;   Parent Loop BB39_24 Depth=1
                                        ; =>  This Inner Loop Header: Depth=2
	s_delay_alu instid0(VALU_DEP_1)
	v_lshl_add_u32 v6, v5, 2, 0
	s_and_not1_b32 s8, s8, exec_lo
	s_and_not1_b32 s7, s7, exec_lo
	s_mov_b32 s12, exec_lo
	ds_load_b32 v10, v6
	s_waitcnt lgkmcnt(0)
	v_cmpx_ne_u32_e64 v10, v4
	s_cbranch_execz .LBB39_26
; %bb.28:                               ;   in Loop: Header=BB39_27 Depth=2
	s_mov_b32 s0, exec_lo
                                        ; implicit-def: $sgpr13
                                        ; implicit-def: $sgpr15
	v_cmpx_ne_u32_e32 -1, v10
	s_xor_b32 s0, exec_lo, s0
; %bb.29:                               ;   in Loop: Header=BB39_27 Depth=2
	v_add_nc_u32_e32 v5, 1, v5
	s_mov_b32 s15, -1
	s_and_b32 s13, s9, exec_lo
                                        ; implicit-def: $vgpr6
	s_delay_alu instid0(VALU_DEP_1)
	v_and_b32_e32 v5, 0x7fff, v5
; %bb.30:                               ;   in Loop: Header=BB39_27 Depth=2
	s_and_not1_saveexec_b32 s19, s0
	s_cbranch_execz .LBB39_25
; %bb.31:                               ;   in Loop: Header=BB39_27 Depth=2
	ds_cmpstore_rtn_b32 v6, v6, v4, v3
	s_and_not1_b32 s15, s15, exec_lo
	s_and_not1_b32 s13, s13, exec_lo
	s_waitcnt lgkmcnt(0)
	v_cmp_eq_u32_e32 vcc_lo, -1, v6
	v_cmp_ne_u32_e64 s0, -1, v6
	s_or_b32 s9, vcc_lo, s9
	s_delay_alu instid0(VALU_DEP_1)
	s_and_b32 s0, s0, exec_lo
	s_and_b32 s9, s9, exec_lo
	s_or_b32 s15, s15, s0
	s_or_b32 s13, s13, s9
	s_branch .LBB39_25
.LBB39_32:
	s_or_b32 exec_lo, exec_lo, s4
.LBB39_33:
	s_delay_alu instid0(SALU_CYCLE_1)
	s_or_b32 exec_lo, exec_lo, s1
.LBB39_34:
	v_mbcnt_lo_u32_b32 v5, -1, 0
	s_mov_b32 s0, exec_lo
	s_barrier
	buffer_gl0_inv
	v_xor_b32_e32 v1, 16, v5
	v_xor_b32_e32 v2, 8, v5
	;; [unrolled: 1-line block ×3, first 2 shown]
	s_delay_alu instid0(VALU_DEP_3) | instskip(SKIP_1) | instid1(VALU_DEP_4)
	v_cmp_gt_i32_e32 vcc_lo, 32, v1
	v_cndmask_b32_e32 v1, v5, v1, vcc_lo
	v_cmp_gt_i32_e32 vcc_lo, 32, v2
	v_cndmask_b32_e32 v2, v5, v2, vcc_lo
	s_delay_alu instid0(VALU_DEP_1) | instskip(NEXT) | instid1(VALU_DEP_4)
	v_lshlrev_b32_e32 v2, 2, v2
	v_lshlrev_b32_e32 v1, 2, v1
	ds_bpermute_b32 v3, v1, v9
	s_waitcnt lgkmcnt(0)
	v_add_nc_u32_e32 v4, v3, v9
	v_xor_b32_e32 v3, 4, v5
	s_delay_alu instid0(VALU_DEP_1)
	v_cmp_gt_i32_e32 vcc_lo, 32, v3
	v_cndmask_b32_e32 v3, v5, v3, vcc_lo
	ds_bpermute_b32 v6, v2, v4
	v_lshlrev_b32_e32 v3, 2, v3
	s_waitcnt lgkmcnt(0)
	v_add_nc_u32_e32 v6, v6, v4
	v_xor_b32_e32 v4, 2, v5
	s_delay_alu instid0(VALU_DEP_1) | instskip(SKIP_2) | instid1(VALU_DEP_2)
	v_cmp_gt_i32_e32 vcc_lo, 32, v4
	v_cndmask_b32_e32 v4, v5, v4, vcc_lo
	v_cmp_gt_i32_e32 vcc_lo, 32, v10
	v_dual_cndmask_b32 v5, v5, v10 :: v_dual_lshlrev_b32 v4, 2, v4
	ds_bpermute_b32 v9, v3, v6
	v_lshlrev_b32_e32 v5, 2, v5
	s_waitcnt lgkmcnt(0)
	v_add_nc_u32_e32 v6, v9, v6
	ds_bpermute_b32 v9, v4, v6
	s_waitcnt lgkmcnt(0)
	v_add_nc_u32_e32 v6, v9, v6
	ds_bpermute_b32 v9, v5, v6
	v_cmpx_eq_u32_e32 31, v8
	s_cbranch_execz .LBB39_36
; %bb.35:
	v_lshl_add_u32 v7, v7, 2, 0
	s_waitcnt lgkmcnt(0)
	v_add_nc_u32_e32 v6, v9, v6
	ds_store_b32 v7, v6
.LBB39_36:
	s_or_b32 exec_lo, exec_lo, s0
	v_mov_b32_e32 v6, 0
	s_mov_b32 s0, exec_lo
	s_waitcnt lgkmcnt(0)
	s_barrier
	buffer_gl0_inv
	v_cmpx_gt_u32_e32 32, v0
	s_cbranch_execz .LBB39_38
; %bb.37:
	v_lshl_add_u32 v6, v0, 2, 0
	ds_load_b32 v6, v6
.LBB39_38:
	s_or_b32 exec_lo, exec_lo, s0
	s_waitcnt lgkmcnt(0)
	ds_bpermute_b32 v1, v1, v6
	s_mov_b32 s0, exec_lo
	s_waitcnt lgkmcnt(0)
	v_add_nc_u32_e32 v1, v1, v6
	ds_bpermute_b32 v2, v2, v1
	s_waitcnt lgkmcnt(0)
	v_add_nc_u32_e32 v1, v2, v1
	ds_bpermute_b32 v2, v3, v1
	;; [unrolled: 3-line block ×4, first 2 shown]
	v_cmpx_eq_u32_e32 31, v0
	s_cbranch_execz .LBB39_40
; %bb.39:
	s_waitcnt lgkmcnt(0)
	v_add_nc_u32_e32 v0, v2, v1
	s_ashr_i32 s19, s18, 31
	v_mov_b32_e32 v2, 0
	s_lshl_b64 s[0:1], s[18:19], 3
	s_delay_alu instid0(SALU_CYCLE_1)
	s_add_u32 s0, s16, s0
	v_ashrrev_i32_e32 v1, 31, v0
	s_addc_u32 s1, s17, s1
	global_store_b64 v2, v[0:1], s[0:1]
.LBB39_40:
	s_nop 0
	s_sendmsg sendmsg(MSG_DEALLOC_VGPRS)
	s_endpgm
	.section	.rodata,"a",@progbits
	.p2align	6, 0x0
	.amdhsa_kernel _ZN9rocsparseL25csrgemm_nnz_block_per_rowILj1024ELj32ELj32768ELj79EliEEvPKT4_S3_PKT3_S3_S6_S3_S6_S3_PS4_21rocsparse_index_base_S8_S8_bb
		.amdhsa_group_segment_fixed_size 0
		.amdhsa_private_segment_fixed_size 0
		.amdhsa_kernarg_size 88
		.amdhsa_user_sgpr_count 15
		.amdhsa_user_sgpr_dispatch_ptr 0
		.amdhsa_user_sgpr_queue_ptr 0
		.amdhsa_user_sgpr_kernarg_segment_ptr 1
		.amdhsa_user_sgpr_dispatch_id 0
		.amdhsa_user_sgpr_private_segment_size 0
		.amdhsa_wavefront_size32 1
		.amdhsa_uses_dynamic_stack 0
		.amdhsa_enable_private_segment 0
		.amdhsa_system_sgpr_workgroup_id_x 1
		.amdhsa_system_sgpr_workgroup_id_y 0
		.amdhsa_system_sgpr_workgroup_id_z 0
		.amdhsa_system_sgpr_workgroup_info 0
		.amdhsa_system_vgpr_workitem_id 0
		.amdhsa_next_free_vgpr 17
		.amdhsa_next_free_sgpr 36
		.amdhsa_reserve_vcc 1
		.amdhsa_float_round_mode_32 0
		.amdhsa_float_round_mode_16_64 0
		.amdhsa_float_denorm_mode_32 3
		.amdhsa_float_denorm_mode_16_64 3
		.amdhsa_dx10_clamp 1
		.amdhsa_ieee_mode 1
		.amdhsa_fp16_overflow 0
		.amdhsa_workgroup_processor_mode 1
		.amdhsa_memory_ordered 1
		.amdhsa_forward_progress 0
		.amdhsa_shared_vgpr_count 0
		.amdhsa_exception_fp_ieee_invalid_op 0
		.amdhsa_exception_fp_denorm_src 0
		.amdhsa_exception_fp_ieee_div_zero 0
		.amdhsa_exception_fp_ieee_overflow 0
		.amdhsa_exception_fp_ieee_underflow 0
		.amdhsa_exception_fp_ieee_inexact 0
		.amdhsa_exception_int_div_zero 0
	.end_amdhsa_kernel
	.section	.text._ZN9rocsparseL25csrgemm_nnz_block_per_rowILj1024ELj32ELj32768ELj79EliEEvPKT4_S3_PKT3_S3_S6_S3_S6_S3_PS4_21rocsparse_index_base_S8_S8_bb,"axG",@progbits,_ZN9rocsparseL25csrgemm_nnz_block_per_rowILj1024ELj32ELj32768ELj79EliEEvPKT4_S3_PKT3_S3_S6_S3_S6_S3_PS4_21rocsparse_index_base_S8_S8_bb,comdat
.Lfunc_end39:
	.size	_ZN9rocsparseL25csrgemm_nnz_block_per_rowILj1024ELj32ELj32768ELj79EliEEvPKT4_S3_PKT3_S3_S6_S3_S6_S3_PS4_21rocsparse_index_base_S8_S8_bb, .Lfunc_end39-_ZN9rocsparseL25csrgemm_nnz_block_per_rowILj1024ELj32ELj32768ELj79EliEEvPKT4_S3_PKT3_S3_S6_S3_S6_S3_PS4_21rocsparse_index_base_S8_S8_bb
                                        ; -- End function
	.section	.AMDGPU.csdata,"",@progbits
; Kernel info:
; codeLenInByte = 1800
; NumSgprs: 38
; NumVgprs: 17
; ScratchSize: 0
; MemoryBound: 0
; FloatMode: 240
; IeeeMode: 1
; LDSByteSize: 0 bytes/workgroup (compile time only)
; SGPRBlocks: 4
; VGPRBlocks: 2
; NumSGPRsForWavesPerEU: 38
; NumVGPRsForWavesPerEU: 17
; Occupancy: 16
; WaveLimiterHint : 1
; COMPUTE_PGM_RSRC2:SCRATCH_EN: 0
; COMPUTE_PGM_RSRC2:USER_SGPR: 15
; COMPUTE_PGM_RSRC2:TRAP_HANDLER: 0
; COMPUTE_PGM_RSRC2:TGID_X_EN: 1
; COMPUTE_PGM_RSRC2:TGID_Y_EN: 0
; COMPUTE_PGM_RSRC2:TGID_Z_EN: 0
; COMPUTE_PGM_RSRC2:TIDIG_COMP_CNT: 0
	.section	.text._ZN9rocsparseL25csrgemm_nnz_block_per_rowILj1024ELj32ELj65536ELj79EliEEvPKT4_S3_PKT3_S3_S6_S3_S6_S3_PS4_21rocsparse_index_base_S8_S8_bb,"axG",@progbits,_ZN9rocsparseL25csrgemm_nnz_block_per_rowILj1024ELj32ELj65536ELj79EliEEvPKT4_S3_PKT3_S3_S6_S3_S6_S3_PS4_21rocsparse_index_base_S8_S8_bb,comdat
	.globl	_ZN9rocsparseL25csrgemm_nnz_block_per_rowILj1024ELj32ELj65536ELj79EliEEvPKT4_S3_PKT3_S3_S6_S3_S6_S3_PS4_21rocsparse_index_base_S8_S8_bb ; -- Begin function _ZN9rocsparseL25csrgemm_nnz_block_per_rowILj1024ELj32ELj65536ELj79EliEEvPKT4_S3_PKT3_S3_S6_S3_S6_S3_PS4_21rocsparse_index_base_S8_S8_bb
	.p2align	8
	.type	_ZN9rocsparseL25csrgemm_nnz_block_per_rowILj1024ELj32ELj65536ELj79EliEEvPKT4_S3_PKT3_S3_S6_S3_S6_S3_PS4_21rocsparse_index_base_S8_S8_bb,@function
_ZN9rocsparseL25csrgemm_nnz_block_per_rowILj1024ELj32ELj65536ELj79EliEEvPKT4_S3_PKT3_S3_S6_S3_S6_S3_PS4_21rocsparse_index_base_S8_S8_bb: ; @_ZN9rocsparseL25csrgemm_nnz_block_per_rowILj1024ELj32ELj65536ELj79EliEEvPKT4_S3_PKT3_S3_S6_S3_S6_S3_PS4_21rocsparse_index_base_S8_S8_bb
; %bb.0:
	s_load_b256 s[16:23], s[0:1], 0x0
	s_mov_b32 s3, 0
	v_or_b32_e32 v1, 0xfffffc00, v0
	v_lshl_add_u32 v2, v0, 2, 0
	v_mov_b32_e32 v3, -1
	s_waitcnt lgkmcnt(0)
	s_load_b32 s2, s[16:17], 0x0
	s_load_b64 s[16:17], s[0:1], 0x40
	s_waitcnt lgkmcnt(0)
	s_add_i32 s2, s2, s15
	s_delay_alu instid0(SALU_CYCLE_1) | instskip(NEXT) | instid1(SALU_CYCLE_1)
	s_lshl_b64 s[4:5], s[2:3], 2
	s_add_u32 s12, s18, s4
	s_addc_u32 s13, s19, s5
	s_load_b256 s[4:11], s[0:1], 0x20
	s_load_b32 s18, s[12:13], 0x0
.LBB40_1:                               ; =>This Inner Loop Header: Depth=1
	v_add_nc_u32_e32 v1, 0x400, v1
	ds_store_b32 v2, v3
	v_add_nc_u32_e32 v2, 0x1000, v2
	v_cmp_lt_u32_e32 vcc_lo, 0xfbff, v1
	s_or_b32 s3, vcc_lo, s3
	s_delay_alu instid0(SALU_CYCLE_1)
	s_and_not1_b32 exec_lo, exec_lo, s3
	s_cbranch_execnz .LBB40_1
; %bb.2:
	s_or_b32 exec_lo, exec_lo, s3
	s_load_b128 s[12:15], s[0:1], 0x48
	v_dual_mov_b32 v9, 0 :: v_dual_and_b32 v8, 31, v0
	v_lshrrev_b32_e32 v7, 5, v0
	s_waitcnt lgkmcnt(0)
	s_barrier
	buffer_gl0_inv
	s_bitcmp1_b32 s15, 0
	s_cselect_b32 s2, -1, 0
	s_delay_alu instid0(SALU_CYCLE_1)
	s_and_b32 vcc_lo, exec_lo, s2
	s_cbranch_vccz .LBB40_20
; %bb.3:
	s_ashr_i32 s19, s18, 31
	v_mov_b32_e32 v9, 0
	s_lshl_b64 s[2:3], s[18:19], 3
	s_mov_b32 s15, 0
	s_add_u32 s2, s20, s2
	s_addc_u32 s3, s21, s3
	s_load_b128 s[24:27], s[2:3], 0x0
	v_sub_co_u32 v1, s2, v7, s12
	s_delay_alu instid0(VALU_DEP_1) | instskip(SKIP_2) | instid1(VALU_DEP_2)
	v_sub_co_ci_u32_e64 v2, null, 0, 0, s2
	s_mov_b32 s3, exec_lo
	s_waitcnt lgkmcnt(0)
	v_add_co_u32 v1, vcc_lo, v1, s24
	s_delay_alu instid0(VALU_DEP_2)
	v_add_co_ci_u32_e32 v2, vcc_lo, s25, v2, vcc_lo
	s_sub_u32 s20, s26, s12
	s_subb_u32 s21, s27, 0
	s_delay_alu instid0(VALU_DEP_1) | instid1(SALU_CYCLE_1)
	v_cmpx_gt_i64_e64 s[20:21], v[1:2]
	s_cbranch_execz .LBB40_19
; %bb.4:
	v_sub_co_u32 v10, s2, v8, s13
	v_dual_mov_b32 v9, 0 :: v_dual_mov_b32 v12, -1
	v_sub_co_ci_u32_e64 v11, null, 0, 0, s2
	s_mov_b32 s19, s13
	s_branch .LBB40_7
.LBB40_5:                               ;   in Loop: Header=BB40_7 Depth=1
	s_or_b32 exec_lo, exec_lo, s25
.LBB40_6:                               ;   in Loop: Header=BB40_7 Depth=1
	s_delay_alu instid0(SALU_CYCLE_1) | instskip(SKIP_2) | instid1(VALU_DEP_1)
	s_or_b32 exec_lo, exec_lo, s24
	v_add_co_u32 v1, vcc_lo, v1, 32
	v_add_co_ci_u32_e32 v2, vcc_lo, 0, v2, vcc_lo
	v_cmp_le_i64_e32 vcc_lo, s[20:21], v[1:2]
	s_or_b32 s15, vcc_lo, s15
	s_delay_alu instid0(SALU_CYCLE_1)
	s_and_not1_b32 exec_lo, exec_lo, s15
	s_cbranch_execz .LBB40_18
.LBB40_7:                               ; =>This Loop Header: Depth=1
                                        ;     Child Loop BB40_10 Depth 2
                                        ;       Child Loop BB40_13 Depth 3
	v_lshlrev_b64 v[3:4], 2, v[1:2]
	s_mov_b32 s24, exec_lo
	s_delay_alu instid0(VALU_DEP_1) | instskip(NEXT) | instid1(VALU_DEP_2)
	v_add_co_u32 v3, vcc_lo, s22, v3
	v_add_co_ci_u32_e32 v4, vcc_lo, s23, v4, vcc_lo
	global_load_b32 v3, v[3:4], off
	s_waitcnt vmcnt(0)
	v_subrev_nc_u32_e32 v3, s12, v3
	s_delay_alu instid0(VALU_DEP_1) | instskip(NEXT) | instid1(VALU_DEP_1)
	v_ashrrev_i32_e32 v4, 31, v3
	v_lshlrev_b64 v[3:4], 3, v[3:4]
	s_delay_alu instid0(VALU_DEP_1) | instskip(NEXT) | instid1(VALU_DEP_2)
	v_add_co_u32 v3, vcc_lo, s4, v3
	v_add_co_ci_u32_e32 v4, vcc_lo, s5, v4, vcc_lo
	global_load_b128 v[13:16], v[3:4], off
	s_waitcnt vmcnt(0)
	v_sub_co_u32 v3, vcc_lo, v15, s19
	v_subrev_co_ci_u32_e32 v4, vcc_lo, 0, v16, vcc_lo
	v_add_co_u32 v5, vcc_lo, v10, v13
	v_add_co_ci_u32_e32 v6, vcc_lo, v11, v14, vcc_lo
	s_delay_alu instid0(VALU_DEP_1)
	v_cmpx_lt_i64_e64 v[5:6], v[3:4]
	s_cbranch_execz .LBB40_6
; %bb.8:                                ;   in Loop: Header=BB40_7 Depth=1
	s_mov_b32 s25, 0
	s_branch .LBB40_10
.LBB40_9:                               ;   in Loop: Header=BB40_10 Depth=2
	s_or_b32 exec_lo, exec_lo, s27
	v_add_co_u32 v5, vcc_lo, v5, 32
	v_add_co_ci_u32_e32 v6, vcc_lo, 0, v6, vcc_lo
	v_cndmask_b32_e64 v13, 0, 1, s26
	s_delay_alu instid0(VALU_DEP_2) | instskip(NEXT) | instid1(VALU_DEP_2)
	v_cmp_ge_i64_e32 vcc_lo, v[5:6], v[3:4]
	v_add_nc_u32_e32 v9, v9, v13
	s_or_b32 s25, vcc_lo, s25
	s_delay_alu instid0(SALU_CYCLE_1)
	s_and_not1_b32 exec_lo, exec_lo, s25
	s_cbranch_execz .LBB40_5
.LBB40_10:                              ;   Parent Loop BB40_7 Depth=1
                                        ; =>  This Loop Header: Depth=2
                                        ;       Child Loop BB40_13 Depth 3
	v_lshlrev_b64 v[13:14], 2, v[5:6]
	s_mov_b32 s27, 0
                                        ; implicit-def: $sgpr26
                                        ; implicit-def: $sgpr28
                                        ; implicit-def: $sgpr29
                                        ; implicit-def: $sgpr30
	s_delay_alu instid0(VALU_DEP_1) | instskip(NEXT) | instid1(VALU_DEP_2)
	v_add_co_u32 v13, vcc_lo, s6, v13
	v_add_co_ci_u32_e32 v14, vcc_lo, s7, v14, vcc_lo
	global_load_b32 v13, v[13:14], off
	s_waitcnt vmcnt(0)
	v_subrev_nc_u32_e32 v13, s13, v13
	s_delay_alu instid0(VALU_DEP_1) | instskip(NEXT) | instid1(VALU_DEP_1)
	v_mul_lo_u32 v14, 0x4f, v13
	v_and_b32_e32 v14, 0xffff, v14
	s_branch .LBB40_13
.LBB40_11:                              ;   in Loop: Header=BB40_13 Depth=3
	s_or_b32 exec_lo, exec_lo, s35
	s_delay_alu instid0(SALU_CYCLE_1)
	s_and_not1_b32 s2, s29, exec_lo
	s_and_b32 s29, s33, exec_lo
	s_and_not1_b32 s28, s28, exec_lo
	s_and_b32 s30, s34, exec_lo
	s_or_b32 s29, s2, s29
	s_or_b32 s28, s28, s30
                                        ; implicit-def: $sgpr30
.LBB40_12:                              ;   in Loop: Header=BB40_13 Depth=3
	s_or_b32 exec_lo, exec_lo, s31
	s_xor_b32 s2, s28, -1
	s_delay_alu instid0(SALU_CYCLE_1) | instskip(NEXT) | instid1(SALU_CYCLE_1)
	s_and_b32 s2, exec_lo, s2
	s_or_b32 s27, s2, s27
	s_and_not1_b32 s2, s30, exec_lo
	s_and_b32 s31, s29, exec_lo
	s_and_not1_b32 s26, s26, exec_lo
	s_or_b32 s30, s2, s31
	s_or_b32 s26, s26, s31
	s_and_not1_b32 exec_lo, exec_lo, s27
	s_cbranch_execz .LBB40_9
.LBB40_13:                              ;   Parent Loop BB40_7 Depth=1
                                        ;     Parent Loop BB40_10 Depth=2
                                        ; =>    This Inner Loop Header: Depth=3
	s_delay_alu instid0(VALU_DEP_1)
	v_lshl_add_u32 v15, v14, 2, 0
	s_and_not1_b32 s29, s29, exec_lo
	s_and_not1_b32 s28, s28, exec_lo
	s_mov_b32 s31, exec_lo
	ds_load_b32 v16, v15
	s_waitcnt lgkmcnt(0)
	v_cmpx_ne_u32_e64 v16, v13
	s_cbranch_execz .LBB40_12
; %bb.14:                               ;   in Loop: Header=BB40_13 Depth=3
	s_mov_b32 s2, exec_lo
                                        ; implicit-def: $sgpr33
                                        ; implicit-def: $sgpr34
	v_cmpx_ne_u32_e32 -1, v16
	s_xor_b32 s2, exec_lo, s2
; %bb.15:                               ;   in Loop: Header=BB40_13 Depth=3
	v_add_nc_u32_e32 v14, 1, v14
	s_mov_b32 s34, -1
	s_and_b32 s33, s30, exec_lo
                                        ; implicit-def: $vgpr15
	s_delay_alu instid0(VALU_DEP_1)
	v_and_b32_e32 v14, 0xffff, v14
; %bb.16:                               ;   in Loop: Header=BB40_13 Depth=3
	s_and_not1_saveexec_b32 s35, s2
	s_cbranch_execz .LBB40_11
; %bb.17:                               ;   in Loop: Header=BB40_13 Depth=3
	ds_cmpstore_rtn_b32 v15, v15, v13, v12
	s_and_not1_b32 s34, s34, exec_lo
	s_and_not1_b32 s33, s33, exec_lo
	s_waitcnt lgkmcnt(0)
	v_cmp_eq_u32_e32 vcc_lo, -1, v15
	v_cmp_ne_u32_e64 s2, -1, v15
	s_or_b32 s30, vcc_lo, s30
	s_delay_alu instid0(VALU_DEP_1)
	s_and_b32 s2, s2, exec_lo
	s_and_b32 s30, s30, exec_lo
	s_or_b32 s34, s34, s2
	s_or_b32 s33, s33, s30
	s_branch .LBB40_11
.LBB40_18:
	s_or_b32 exec_lo, exec_lo, s15
.LBB40_19:
	s_delay_alu instid0(SALU_CYCLE_1)
	s_or_b32 exec_lo, exec_lo, s3
.LBB40_20:
	s_load_b32 s0, s[0:1], 0x54
	s_waitcnt lgkmcnt(0)
	s_bfe_u32 s0, s0, 0x10008
	s_delay_alu instid0(SALU_CYCLE_1)
	s_cmp_eq_u32 s0, 0
	s_cbranch_scc1 .LBB40_34
; %bb.21:
	s_ashr_i32 s19, s18, 31
	v_sub_co_u32 v1, s4, v7, s14
	s_lshl_b64 s[0:1], s[18:19], 3
	v_sub_co_ci_u32_e64 v2, null, 0, 0, s4
	s_add_u32 s0, s8, s0
	s_addc_u32 s1, s9, s1
	s_load_b128 s[0:3], s[0:1], 0x0
	s_waitcnt lgkmcnt(0)
	v_add_co_u32 v1, vcc_lo, v1, s0
	v_add_co_ci_u32_e32 v2, vcc_lo, s1, v2, vcc_lo
	s_sub_u32 s2, s2, s14
	s_subb_u32 s3, s3, 0
	s_mov_b32 s1, exec_lo
	s_delay_alu instid0(VALU_DEP_1)
	v_cmpx_gt_i64_e64 s[2:3], v[1:2]
	s_cbranch_execz .LBB40_33
; %bb.22:
	v_mov_b32_e32 v3, -1
	s_mov_b32 s4, 0
	s_branch .LBB40_24
.LBB40_23:                              ;   in Loop: Header=BB40_24 Depth=1
	s_or_b32 exec_lo, exec_lo, s6
	v_add_co_u32 v1, vcc_lo, v1, 32
	v_add_co_ci_u32_e32 v2, vcc_lo, 0, v2, vcc_lo
	v_cndmask_b32_e64 v4, 0, 1, s5
	s_delay_alu instid0(VALU_DEP_2) | instskip(NEXT) | instid1(VALU_DEP_2)
	v_cmp_le_i64_e32 vcc_lo, s[2:3], v[1:2]
	v_add_nc_u32_e32 v9, v9, v4
	s_or_b32 s4, vcc_lo, s4
	s_delay_alu instid0(SALU_CYCLE_1)
	s_and_not1_b32 exec_lo, exec_lo, s4
	s_cbranch_execz .LBB40_32
.LBB40_24:                              ; =>This Loop Header: Depth=1
                                        ;     Child Loop BB40_27 Depth 2
	v_lshlrev_b64 v[4:5], 2, v[1:2]
	s_mov_b32 s6, 0
                                        ; implicit-def: $sgpr5
                                        ; implicit-def: $sgpr7
                                        ; implicit-def: $sgpr8
                                        ; implicit-def: $sgpr9
	s_delay_alu instid0(VALU_DEP_1) | instskip(NEXT) | instid1(VALU_DEP_2)
	v_add_co_u32 v4, vcc_lo, s10, v4
	v_add_co_ci_u32_e32 v5, vcc_lo, s11, v5, vcc_lo
	global_load_b32 v4, v[4:5], off
	s_waitcnt vmcnt(0)
	v_subrev_nc_u32_e32 v4, s14, v4
	s_delay_alu instid0(VALU_DEP_1) | instskip(NEXT) | instid1(VALU_DEP_1)
	v_mul_lo_u32 v5, 0x4f, v4
	v_and_b32_e32 v5, 0xffff, v5
	s_branch .LBB40_27
.LBB40_25:                              ;   in Loop: Header=BB40_27 Depth=2
	s_or_b32 exec_lo, exec_lo, s19
	s_delay_alu instid0(SALU_CYCLE_1)
	s_and_not1_b32 s0, s8, exec_lo
	s_and_b32 s8, s13, exec_lo
	s_and_not1_b32 s7, s7, exec_lo
	s_and_b32 s9, s15, exec_lo
	s_or_b32 s8, s0, s8
	s_or_b32 s7, s7, s9
                                        ; implicit-def: $sgpr9
.LBB40_26:                              ;   in Loop: Header=BB40_27 Depth=2
	s_or_b32 exec_lo, exec_lo, s12
	s_xor_b32 s0, s7, -1
	s_delay_alu instid0(SALU_CYCLE_1) | instskip(NEXT) | instid1(SALU_CYCLE_1)
	s_and_b32 s0, exec_lo, s0
	s_or_b32 s6, s0, s6
	s_and_not1_b32 s0, s9, exec_lo
	s_and_b32 s12, s8, exec_lo
	s_and_not1_b32 s5, s5, exec_lo
	s_or_b32 s9, s0, s12
	s_or_b32 s5, s5, s12
	s_and_not1_b32 exec_lo, exec_lo, s6
	s_cbranch_execz .LBB40_23
.LBB40_27:                              ;   Parent Loop BB40_24 Depth=1
                                        ; =>  This Inner Loop Header: Depth=2
	s_delay_alu instid0(VALU_DEP_1)
	v_lshl_add_u32 v6, v5, 2, 0
	s_and_not1_b32 s8, s8, exec_lo
	s_and_not1_b32 s7, s7, exec_lo
	s_mov_b32 s12, exec_lo
	ds_load_b32 v10, v6
	s_waitcnt lgkmcnt(0)
	v_cmpx_ne_u32_e64 v10, v4
	s_cbranch_execz .LBB40_26
; %bb.28:                               ;   in Loop: Header=BB40_27 Depth=2
	s_mov_b32 s0, exec_lo
                                        ; implicit-def: $sgpr13
                                        ; implicit-def: $sgpr15
	v_cmpx_ne_u32_e32 -1, v10
	s_xor_b32 s0, exec_lo, s0
; %bb.29:                               ;   in Loop: Header=BB40_27 Depth=2
	v_add_nc_u32_e32 v5, 1, v5
	s_mov_b32 s15, -1
	s_and_b32 s13, s9, exec_lo
                                        ; implicit-def: $vgpr6
	s_delay_alu instid0(VALU_DEP_1)
	v_and_b32_e32 v5, 0xffff, v5
; %bb.30:                               ;   in Loop: Header=BB40_27 Depth=2
	s_and_not1_saveexec_b32 s19, s0
	s_cbranch_execz .LBB40_25
; %bb.31:                               ;   in Loop: Header=BB40_27 Depth=2
	ds_cmpstore_rtn_b32 v6, v6, v4, v3
	s_and_not1_b32 s15, s15, exec_lo
	s_and_not1_b32 s13, s13, exec_lo
	s_waitcnt lgkmcnt(0)
	v_cmp_eq_u32_e32 vcc_lo, -1, v6
	v_cmp_ne_u32_e64 s0, -1, v6
	s_or_b32 s9, vcc_lo, s9
	s_delay_alu instid0(VALU_DEP_1)
	s_and_b32 s0, s0, exec_lo
	s_and_b32 s9, s9, exec_lo
	s_or_b32 s15, s15, s0
	s_or_b32 s13, s13, s9
	s_branch .LBB40_25
.LBB40_32:
	s_or_b32 exec_lo, exec_lo, s4
.LBB40_33:
	s_delay_alu instid0(SALU_CYCLE_1)
	s_or_b32 exec_lo, exec_lo, s1
.LBB40_34:
	v_mbcnt_lo_u32_b32 v5, -1, 0
	s_mov_b32 s0, exec_lo
	s_barrier
	buffer_gl0_inv
	v_xor_b32_e32 v1, 16, v5
	v_xor_b32_e32 v2, 8, v5
	;; [unrolled: 1-line block ×3, first 2 shown]
	s_delay_alu instid0(VALU_DEP_3) | instskip(SKIP_1) | instid1(VALU_DEP_4)
	v_cmp_gt_i32_e32 vcc_lo, 32, v1
	v_cndmask_b32_e32 v1, v5, v1, vcc_lo
	v_cmp_gt_i32_e32 vcc_lo, 32, v2
	v_cndmask_b32_e32 v2, v5, v2, vcc_lo
	s_delay_alu instid0(VALU_DEP_1) | instskip(NEXT) | instid1(VALU_DEP_4)
	v_lshlrev_b32_e32 v2, 2, v2
	v_lshlrev_b32_e32 v1, 2, v1
	ds_bpermute_b32 v3, v1, v9
	s_waitcnt lgkmcnt(0)
	v_add_nc_u32_e32 v4, v3, v9
	v_xor_b32_e32 v3, 4, v5
	s_delay_alu instid0(VALU_DEP_1)
	v_cmp_gt_i32_e32 vcc_lo, 32, v3
	v_cndmask_b32_e32 v3, v5, v3, vcc_lo
	ds_bpermute_b32 v6, v2, v4
	v_lshlrev_b32_e32 v3, 2, v3
	s_waitcnt lgkmcnt(0)
	v_add_nc_u32_e32 v6, v6, v4
	v_xor_b32_e32 v4, 2, v5
	s_delay_alu instid0(VALU_DEP_1) | instskip(SKIP_2) | instid1(VALU_DEP_2)
	v_cmp_gt_i32_e32 vcc_lo, 32, v4
	v_cndmask_b32_e32 v4, v5, v4, vcc_lo
	v_cmp_gt_i32_e32 vcc_lo, 32, v10
	v_dual_cndmask_b32 v5, v5, v10 :: v_dual_lshlrev_b32 v4, 2, v4
	ds_bpermute_b32 v9, v3, v6
	v_lshlrev_b32_e32 v5, 2, v5
	s_waitcnt lgkmcnt(0)
	v_add_nc_u32_e32 v6, v9, v6
	ds_bpermute_b32 v9, v4, v6
	s_waitcnt lgkmcnt(0)
	v_add_nc_u32_e32 v6, v9, v6
	ds_bpermute_b32 v9, v5, v6
	v_cmpx_eq_u32_e32 31, v8
	s_cbranch_execz .LBB40_36
; %bb.35:
	v_lshl_add_u32 v7, v7, 2, 0
	s_waitcnt lgkmcnt(0)
	v_add_nc_u32_e32 v6, v9, v6
	ds_store_b32 v7, v6
.LBB40_36:
	s_or_b32 exec_lo, exec_lo, s0
	v_mov_b32_e32 v6, 0
	s_mov_b32 s0, exec_lo
	s_waitcnt lgkmcnt(0)
	s_barrier
	buffer_gl0_inv
	v_cmpx_gt_u32_e32 32, v0
	s_cbranch_execz .LBB40_38
; %bb.37:
	v_lshl_add_u32 v6, v0, 2, 0
	ds_load_b32 v6, v6
.LBB40_38:
	s_or_b32 exec_lo, exec_lo, s0
	s_waitcnt lgkmcnt(0)
	ds_bpermute_b32 v1, v1, v6
	s_mov_b32 s0, exec_lo
	s_waitcnt lgkmcnt(0)
	v_add_nc_u32_e32 v1, v1, v6
	ds_bpermute_b32 v2, v2, v1
	s_waitcnt lgkmcnt(0)
	v_add_nc_u32_e32 v1, v2, v1
	ds_bpermute_b32 v2, v3, v1
	s_waitcnt lgkmcnt(0)
	v_add_nc_u32_e32 v1, v2, v1
	ds_bpermute_b32 v2, v4, v1
	s_waitcnt lgkmcnt(0)
	v_add_nc_u32_e32 v1, v2, v1
	ds_bpermute_b32 v2, v5, v1
	v_cmpx_eq_u32_e32 31, v0
	s_cbranch_execz .LBB40_40
; %bb.39:
	s_waitcnt lgkmcnt(0)
	v_add_nc_u32_e32 v0, v2, v1
	s_ashr_i32 s19, s18, 31
	v_mov_b32_e32 v2, 0
	s_lshl_b64 s[0:1], s[18:19], 3
	s_delay_alu instid0(SALU_CYCLE_1)
	s_add_u32 s0, s16, s0
	v_ashrrev_i32_e32 v1, 31, v0
	s_addc_u32 s1, s17, s1
	global_store_b64 v2, v[0:1], s[0:1]
.LBB40_40:
	s_nop 0
	s_sendmsg sendmsg(MSG_DEALLOC_VGPRS)
	s_endpgm
	.section	.rodata,"a",@progbits
	.p2align	6, 0x0
	.amdhsa_kernel _ZN9rocsparseL25csrgemm_nnz_block_per_rowILj1024ELj32ELj65536ELj79EliEEvPKT4_S3_PKT3_S3_S6_S3_S6_S3_PS4_21rocsparse_index_base_S8_S8_bb
		.amdhsa_group_segment_fixed_size 0
		.amdhsa_private_segment_fixed_size 0
		.amdhsa_kernarg_size 88
		.amdhsa_user_sgpr_count 15
		.amdhsa_user_sgpr_dispatch_ptr 0
		.amdhsa_user_sgpr_queue_ptr 0
		.amdhsa_user_sgpr_kernarg_segment_ptr 1
		.amdhsa_user_sgpr_dispatch_id 0
		.amdhsa_user_sgpr_private_segment_size 0
		.amdhsa_wavefront_size32 1
		.amdhsa_uses_dynamic_stack 0
		.amdhsa_enable_private_segment 0
		.amdhsa_system_sgpr_workgroup_id_x 1
		.amdhsa_system_sgpr_workgroup_id_y 0
		.amdhsa_system_sgpr_workgroup_id_z 0
		.amdhsa_system_sgpr_workgroup_info 0
		.amdhsa_system_vgpr_workitem_id 0
		.amdhsa_next_free_vgpr 17
		.amdhsa_next_free_sgpr 36
		.amdhsa_reserve_vcc 1
		.amdhsa_float_round_mode_32 0
		.amdhsa_float_round_mode_16_64 0
		.amdhsa_float_denorm_mode_32 3
		.amdhsa_float_denorm_mode_16_64 3
		.amdhsa_dx10_clamp 1
		.amdhsa_ieee_mode 1
		.amdhsa_fp16_overflow 0
		.amdhsa_workgroup_processor_mode 1
		.amdhsa_memory_ordered 1
		.amdhsa_forward_progress 0
		.amdhsa_shared_vgpr_count 0
		.amdhsa_exception_fp_ieee_invalid_op 0
		.amdhsa_exception_fp_denorm_src 0
		.amdhsa_exception_fp_ieee_div_zero 0
		.amdhsa_exception_fp_ieee_overflow 0
		.amdhsa_exception_fp_ieee_underflow 0
		.amdhsa_exception_fp_ieee_inexact 0
		.amdhsa_exception_int_div_zero 0
	.end_amdhsa_kernel
	.section	.text._ZN9rocsparseL25csrgemm_nnz_block_per_rowILj1024ELj32ELj65536ELj79EliEEvPKT4_S3_PKT3_S3_S6_S3_S6_S3_PS4_21rocsparse_index_base_S8_S8_bb,"axG",@progbits,_ZN9rocsparseL25csrgemm_nnz_block_per_rowILj1024ELj32ELj65536ELj79EliEEvPKT4_S3_PKT3_S3_S6_S3_S6_S3_PS4_21rocsparse_index_base_S8_S8_bb,comdat
.Lfunc_end40:
	.size	_ZN9rocsparseL25csrgemm_nnz_block_per_rowILj1024ELj32ELj65536ELj79EliEEvPKT4_S3_PKT3_S3_S6_S3_S6_S3_PS4_21rocsparse_index_base_S8_S8_bb, .Lfunc_end40-_ZN9rocsparseL25csrgemm_nnz_block_per_rowILj1024ELj32ELj65536ELj79EliEEvPKT4_S3_PKT3_S3_S6_S3_S6_S3_PS4_21rocsparse_index_base_S8_S8_bb
                                        ; -- End function
	.section	.AMDGPU.csdata,"",@progbits
; Kernel info:
; codeLenInByte = 1800
; NumSgprs: 38
; NumVgprs: 17
; ScratchSize: 0
; MemoryBound: 0
; FloatMode: 240
; IeeeMode: 1
; LDSByteSize: 0 bytes/workgroup (compile time only)
; SGPRBlocks: 4
; VGPRBlocks: 2
; NumSGPRsForWavesPerEU: 38
; NumVGPRsForWavesPerEU: 17
; Occupancy: 16
; WaveLimiterHint : 1
; COMPUTE_PGM_RSRC2:SCRATCH_EN: 0
; COMPUTE_PGM_RSRC2:USER_SGPR: 15
; COMPUTE_PGM_RSRC2:TRAP_HANDLER: 0
; COMPUTE_PGM_RSRC2:TGID_X_EN: 1
; COMPUTE_PGM_RSRC2:TGID_Y_EN: 0
; COMPUTE_PGM_RSRC2:TGID_Z_EN: 0
; COMPUTE_PGM_RSRC2:TIDIG_COMP_CNT: 0
	.section	.text._ZN9rocsparseL35csrgemm_nnz_block_per_row_multipassILj512ELj16ELj2048EliEEvT3_PKS1_S3_PKT2_S3_S6_S3_S6_S3_PS4_S7_21rocsparse_index_base_S8_S8_bb,"axG",@progbits,_ZN9rocsparseL35csrgemm_nnz_block_per_row_multipassILj512ELj16ELj2048EliEEvT3_PKS1_S3_PKT2_S3_S6_S3_S6_S3_PS4_S7_21rocsparse_index_base_S8_S8_bb,comdat
	.globl	_ZN9rocsparseL35csrgemm_nnz_block_per_row_multipassILj512ELj16ELj2048EliEEvT3_PKS1_S3_PKT2_S3_S6_S3_S6_S3_PS4_S7_21rocsparse_index_base_S8_S8_bb ; -- Begin function _ZN9rocsparseL35csrgemm_nnz_block_per_row_multipassILj512ELj16ELj2048EliEEvT3_PKS1_S3_PKT2_S3_S6_S3_S6_S3_PS4_S7_21rocsparse_index_base_S8_S8_bb
	.p2align	8
	.type	_ZN9rocsparseL35csrgemm_nnz_block_per_row_multipassILj512ELj16ELj2048EliEEvT3_PKS1_S3_PKT2_S3_S6_S3_S6_S3_PS4_S7_21rocsparse_index_base_S8_S8_bb,@function
_ZN9rocsparseL35csrgemm_nnz_block_per_row_multipassILj512ELj16ELj2048EliEEvT3_PKS1_S3_PKT2_S3_S6_S3_S6_S3_PS4_S7_21rocsparse_index_base_S8_S8_bb: ; @_ZN9rocsparseL35csrgemm_nnz_block_per_row_multipassILj512ELj16ELj2048EliEEvT3_PKS1_S3_PKT2_S3_S6_S3_S6_S3_PS4_S7_21rocsparse_index_base_S8_S8_bb
; %bb.0:
	s_clause 0x1
	s_load_b128 s[8:11], s[0:1], 0x8
	s_load_b64 s[6:7], s[0:1], 0x18
	s_mov_b32 s3, 0
	s_waitcnt lgkmcnt(0)
	s_load_b32 s2, s[8:9], 0x0
	s_waitcnt lgkmcnt(0)
	s_add_i32 s2, s2, s15
	s_delay_alu instid0(SALU_CYCLE_1) | instskip(SKIP_3) | instid1(VALU_DEP_1)
	s_lshl_b64 s[4:5], s[2:3], 2
	v_cmp_eq_u32_e64 s2, 0, v0
	s_add_u32 s4, s10, s4
	s_addc_u32 s5, s11, s5
	s_and_saveexec_b32 s3, s2
	s_cbranch_execz .LBB41_2
; %bb.1:
	v_mov_b32_e32 v1, 0
	ds_store_b32 v1, v1 offset:2052
.LBB41_2:
	s_or_b32 exec_lo, exec_lo, s3
	s_load_b128 s[16:19], s[0:1], 0x58
	s_load_b32 s20, s[4:5], 0x0
	s_mov_b64 s[22:23], 0
	s_mov_b64 s[4:5], 0
	s_waitcnt lgkmcnt(0)
	s_bitcmp1_b32 s19, 0
	s_cselect_b32 s30, -1, 0
	s_bitcmp0_b32 s19, 0
	s_cbranch_scc0 .LBB41_5
; %bb.3:
	s_and_not1_b32 vcc_lo, exec_lo, s30
	s_cbranch_vccz .LBB41_6
.LBB41_4:
	s_load_b32 s19, s[0:1], 0x0
	s_waitcnt lgkmcnt(0)
	s_cmp_lt_i32 s19, 1
	s_cbranch_scc0 .LBB41_7
	s_branch .LBB41_67
.LBB41_5:
	s_ashr_i32 s21, s20, 31
	s_delay_alu instid0(SALU_CYCLE_1) | instskip(NEXT) | instid1(SALU_CYCLE_1)
	s_lshl_b64 s[4:5], s[20:21], 3
	s_add_u32 s4, s6, s4
	s_addc_u32 s5, s7, s5
	s_load_b64 s[4:5], s[4:5], 0x0
	s_waitcnt lgkmcnt(0)
	s_sub_u32 s4, s4, s16
	s_subb_u32 s5, s5, 0
	s_and_not1_b32 vcc_lo, exec_lo, s30
	s_cbranch_vccnz .LBB41_4
.LBB41_6:
	s_ashr_i32 s21, s20, 31
	s_delay_alu instid0(SALU_CYCLE_1) | instskip(NEXT) | instid1(SALU_CYCLE_1)
	s_lshl_b64 s[8:9], s[20:21], 3
	s_add_u32 s6, s6, s8
	s_addc_u32 s7, s7, s9
	s_load_b64 s[6:7], s[6:7], 0x8
	s_waitcnt lgkmcnt(0)
	s_sub_u32 s22, s6, s16
	s_subb_u32 s23, s7, 0
	s_load_b32 s19, s[0:1], 0x0
	s_waitcnt lgkmcnt(0)
	s_cmp_lt_i32 s19, 1
	s_cbranch_scc1 .LBB41_67
.LBB41_7:
	v_mbcnt_lo_u32_b32 v3, -1, 0
	v_lshrrev_b32_e32 v1, 4, v0
	s_clause 0x3
	s_load_b32 s6, s[0:1], 0x64
	s_load_b256 s[8:15], s[0:1], 0x20
	s_load_b64 s[24:25], s[0:1], 0x50
	s_load_b64 s[26:27], s[0:1], 0x40
	v_dual_mov_b32 v20, 0 :: v_dual_and_b32 v19, 15, v0
	v_xor_b32_e32 v4, 8, v3
	v_add_co_u32 v1, s3, s4, v1
	v_xor_b32_e32 v5, 4, v3
	v_xor_b32_e32 v6, 2, v3
	s_delay_alu instid0(VALU_DEP_4) | instskip(SKIP_3) | instid1(VALU_DEP_4)
	v_cmp_gt_i32_e64 s4, 32, v4
	v_xor_b32_e32 v7, 1, v3
	v_add_co_ci_u32_e64 v2, null, s5, 0, s3
	v_cmp_eq_u32_e64 s3, 15, v19
	v_cndmask_b32_e64 v4, v3, v4, s4
	v_cmp_gt_i32_e64 s4, 32, v5
	s_delay_alu instid0(VALU_DEP_4)
	v_cmp_gt_i64_e32 vcc_lo, s[22:23], v[1:2]
	v_or_b32_e32 v27, 0xfffffe00, v0
	s_waitcnt lgkmcnt(0)
	s_bitcmp1_b32 s6, 8
	v_dual_mov_b32 v30, 0x800 :: v_dual_lshlrev_b32 v23, 2, v4
	v_cndmask_b32_e64 v5, v3, v5, s4
	v_cmp_gt_i32_e64 s4, 32, v6
	s_cselect_b32 s29, -1, 0
	s_ashr_i32 s21, s20, 31
	v_mov_b32_e32 v29, 0
	s_lshl_b64 s[6:7], s[20:21], 3
	v_cndmask_b32_e64 v6, v3, v6, s4
	v_cmp_gt_i32_e64 s4, 32, v7
	s_add_u32 s14, s14, s6
	v_lshlrev_b32_e32 v24, 2, v5
	s_delay_alu instid0(VALU_DEP_3) | instskip(NEXT) | instid1(VALU_DEP_3)
	v_dual_mov_b32 v28, 1 :: v_dual_lshlrev_b32 v25, 2, v6
	v_cndmask_b32_e64 v3, v3, v7, s4
	v_sub_co_u32 v21, s4, v0, s18
	s_delay_alu instid0(VALU_DEP_1) | instskip(NEXT) | instid1(VALU_DEP_3)
	v_sub_co_ci_u32_e64 v22, null, 0, 0, s4
	v_lshlrev_b32_e32 v26, 2, v3
	s_addc_u32 s15, s15, s7
	s_and_b32 s21, s30, vcc_lo
	s_add_u32 s30, s10, 8
	s_mov_b32 s28, s17
	s_addc_u32 s31, s11, 0
	s_mov_b32 s33, -1
	s_branch .LBB41_9
.LBB41_8:                               ;   in Loop: Header=BB41_9 Depth=1
	s_or_b32 exec_lo, exec_lo, s4
	s_waitcnt lgkmcnt(0)
	s_barrier
	buffer_gl0_inv
	ds_load_b32 v29, v20 offset:2048
	s_waitcnt lgkmcnt(0)
	s_barrier
	buffer_gl0_inv
	v_cmp_gt_i32_e32 vcc_lo, s19, v29
	v_add_nc_u32_e32 v30, 0x800, v29
	s_cbranch_vccz .LBB41_67
.LBB41_9:                               ; =>This Loop Header: Depth=1
                                        ;     Child Loop BB41_18 Depth 2
                                        ;       Child Loop BB41_24 Depth 3
                                        ;     Child Loop BB41_45 Depth 2
                                        ;     Child Loop BB41_57 Depth 2
	;; [unrolled: 1-line block ×4, first 2 shown]
	s_and_saveexec_b32 s4, s33
	s_cbranch_execnz .LBB41_36
; %bb.10:                               ;   in Loop: Header=BB41_9 Depth=1
	s_or_b32 exec_lo, exec_lo, s4
	s_and_saveexec_b32 s4, s33
	s_cbranch_execnz .LBB41_37
.LBB41_11:                              ;   in Loop: Header=BB41_9 Depth=1
	s_or_b32 exec_lo, exec_lo, s4
	s_and_saveexec_b32 s4, s33
	s_cbranch_execnz .LBB41_38
.LBB41_12:                              ;   in Loop: Header=BB41_9 Depth=1
	s_or_b32 exec_lo, exec_lo, s4
	s_and_saveexec_b32 s4, s33
	s_cbranch_execnz .LBB41_39
.LBB41_13:                              ;   in Loop: Header=BB41_9 Depth=1
	s_or_b32 exec_lo, exec_lo, s4
	s_and_saveexec_b32 s4, s2
	s_cbranch_execz .LBB41_15
.LBB41_14:                              ;   in Loop: Header=BB41_9 Depth=1
	v_mov_b32_e32 v3, s19
	ds_store_b32 v20, v3 offset:2048
.LBB41_15:                              ;   in Loop: Header=BB41_9 Depth=1
	s_or_b32 exec_lo, exec_lo, s4
	v_mov_b32_e32 v31, s19
	s_waitcnt lgkmcnt(0)
	s_barrier
	buffer_gl0_inv
	s_and_saveexec_b32 s7, s21
	s_cbranch_execz .LBB41_41
; %bb.16:                               ;   in Loop: Header=BB41_9 Depth=1
	v_dual_mov_b32 v31, s19 :: v_dual_mov_b32 v4, v2
	v_cmp_ne_u32_e64 s4, 0, v29
	v_mov_b32_e32 v3, v1
	s_mov_b32 s34, 0
	s_branch .LBB41_18
.LBB41_17:                              ;   in Loop: Header=BB41_18 Depth=2
	s_or_b32 exec_lo, exec_lo, s6
	v_add_co_u32 v3, vcc_lo, v3, 32
	v_add_co_ci_u32_e32 v4, vcc_lo, 0, v4, vcc_lo
	s_delay_alu instid0(VALU_DEP_1) | instskip(SKIP_1) | instid1(SALU_CYCLE_1)
	v_cmp_le_i64_e32 vcc_lo, s[22:23], v[3:4]
	s_or_b32 s34, vcc_lo, s34
	s_and_not1_b32 exec_lo, exec_lo, s34
	s_cbranch_execz .LBB41_40
.LBB41_18:                              ;   Parent Loop BB41_9 Depth=1
                                        ; =>  This Loop Header: Depth=2
                                        ;       Child Loop BB41_24 Depth 3
	s_delay_alu instid0(VALU_DEP_1) | instskip(NEXT) | instid1(VALU_DEP_1)
	v_lshlrev_b64 v[5:6], 2, v[3:4]
	v_add_co_u32 v5, vcc_lo, s8, v5
	s_delay_alu instid0(VALU_DEP_2)
	v_add_co_ci_u32_e32 v6, vcc_lo, s9, v6, vcc_lo
	s_and_b32 vcc_lo, exec_lo, s4
	global_load_b32 v5, v[5:6], off
	s_waitcnt vmcnt(0)
	v_subrev_nc_u32_e32 v7, s16, v5
	v_lshlrev_b64 v[5:6], 3, v[3:4]
	s_delay_alu instid0(VALU_DEP_2)
	v_ashrrev_i32_e32 v8, 31, v7
	s_cbranch_vccz .LBB41_35
; %bb.19:                               ;   in Loop: Header=BB41_18 Depth=2
	s_waitcnt lgkmcnt(0)
	s_delay_alu instid0(VALU_DEP_2) | instskip(NEXT) | instid1(VALU_DEP_3)
	v_add_co_u32 v9, vcc_lo, s24, v5
	v_add_co_ci_u32_e32 v10, vcc_lo, s25, v6, vcc_lo
	global_load_b64 v[11:12], v[9:10], off
	s_cbranch_execnz .LBB41_21
.LBB41_20:                              ;   in Loop: Header=BB41_18 Depth=2
	s_waitcnt lgkmcnt(0)
	s_delay_alu instid0(VALU_DEP_1) | instskip(NEXT) | instid1(VALU_DEP_1)
	v_lshlrev_b64 v[9:10], 3, v[7:8]
	v_add_co_u32 v9, vcc_lo, s10, v9
	s_delay_alu instid0(VALU_DEP_2)
	v_add_co_ci_u32_e32 v10, vcc_lo, s11, v10, vcc_lo
	global_load_b64 v[9:10], v[9:10], off
	s_waitcnt vmcnt(0)
	v_sub_co_u32 v11, vcc_lo, v9, s28
	v_subrev_co_ci_u32_e32 v12, vcc_lo, 0, v10, vcc_lo
.LBB41_21:                              ;   in Loop: Header=BB41_18 Depth=2
	v_lshlrev_b64 v[7:8], 3, v[7:8]
	s_mov_b32 s35, exec_lo
	s_delay_alu instid0(VALU_DEP_1) | instskip(NEXT) | instid1(VALU_DEP_2)
	v_add_co_u32 v7, vcc_lo, s30, v7
	v_add_co_ci_u32_e32 v8, vcc_lo, s31, v8, vcc_lo
	global_load_b64 v[7:8], v[7:8], off
	s_waitcnt vmcnt(0) lgkmcnt(0)
	v_sub_co_u32 v9, vcc_lo, v7, s28
	v_subrev_co_ci_u32_e32 v10, vcc_lo, 0, v8, vcc_lo
	v_add_co_u32 v7, vcc_lo, v11, v19
	v_add_co_ci_u32_e32 v8, vcc_lo, 0, v12, vcc_lo
	s_delay_alu instid0(VALU_DEP_1)
	v_cmpx_lt_i64_e64 v[7:8], v[9:10]
	s_cbranch_execz .LBB41_33
; %bb.22:                               ;   in Loop: Header=BB41_18 Depth=2
	v_lshlrev_b64 v[11:12], 2, v[7:8]
	v_dual_mov_b32 v14, v8 :: v_dual_mov_b32 v13, v7
	s_mov_b32 s37, 0
                                        ; implicit-def: $sgpr36
                                        ; implicit-def: $sgpr38
	s_delay_alu instid0(VALU_DEP_2) | instskip(NEXT) | instid1(VALU_DEP_3)
	v_add_co_u32 v11, vcc_lo, s12, v11
	v_add_co_ci_u32_e32 v12, vcc_lo, s13, v12, vcc_lo
	s_branch .LBB41_24
.LBB41_23:                              ;   in Loop: Header=BB41_24 Depth=3
	s_or_b32 exec_lo, exec_lo, s6
	s_delay_alu instid0(SALU_CYCLE_1) | instskip(SKIP_4) | instid1(SALU_CYCLE_1)
	s_and_b32 s5, exec_lo, s39
	v_dual_mov_b32 v13, v17 :: v_dual_mov_b32 v14, v18
	s_or_b32 s37, s5, s37
	s_and_not1_b32 s5, s36, exec_lo
	s_and_b32 s6, s38, exec_lo
	s_or_b32 s36, s5, s6
	s_and_not1_b32 exec_lo, exec_lo, s37
	s_cbranch_execz .LBB41_30
.LBB41_24:                              ;   Parent Loop BB41_9 Depth=1
                                        ;     Parent Loop BB41_18 Depth=2
                                        ; =>    This Inner Loop Header: Depth=3
	global_load_b32 v15, v[11:12], off
	s_waitcnt vmcnt(0)
	v_subrev_nc_u32_e32 v32, s17, v15
	s_delay_alu instid0(VALU_DEP_1) | instskip(SKIP_2) | instid1(VALU_DEP_2)
	v_cmp_lt_i32_e64 s5, v32, v29
	v_cmp_ge_i32_e64 s6, v32, v30
	v_cmp_lt_i32_e32 vcc_lo, v32, v30
	s_or_b32 s39, s5, s6
	s_mov_b32 s5, 0
                                        ; implicit-def: $sgpr6
	s_and_saveexec_b32 s40, s39
	s_delay_alu instid0(SALU_CYCLE_1)
	s_xor_b32 s39, exec_lo, s40
; %bb.25:                               ;   in Loop: Header=BB41_24 Depth=3
	s_mov_b32 s6, -1
	s_and_b32 s5, vcc_lo, exec_lo
; %bb.26:                               ;   in Loop: Header=BB41_24 Depth=3
	s_and_not1_saveexec_b32 s39, s39
	s_cbranch_execz .LBB41_28
; %bb.27:                               ;   in Loop: Header=BB41_24 Depth=3
	v_sub_nc_u32_e32 v15, v32, v29
	s_or_b32 s5, s5, exec_lo
	ds_store_b8 v15, v28
.LBB41_28:                              ;   in Loop: Header=BB41_24 Depth=3
	s_or_b32 exec_lo, exec_lo, s39
	v_dual_mov_b32 v16, v14 :: v_dual_mov_b32 v15, v13
	s_and_not1_b32 s38, s38, exec_lo
	s_and_b32 s6, s6, exec_lo
	s_mov_b32 s39, -1
	s_or_b32 s38, s38, s6
                                        ; implicit-def: $vgpr17_vgpr18
	s_and_saveexec_b32 s6, s5
	s_cbranch_execz .LBB41_23
; %bb.29:                               ;   in Loop: Header=BB41_24 Depth=3
	v_add_co_u32 v17, vcc_lo, v13, 16
	v_add_co_ci_u32_e32 v18, vcc_lo, 0, v14, vcc_lo
	v_add_co_u32 v11, s5, v11, 64
	s_delay_alu instid0(VALU_DEP_1) | instskip(NEXT) | instid1(VALU_DEP_3)
	v_add_co_ci_u32_e64 v12, s5, 0, v12, s5
	v_cmp_ge_i64_e32 vcc_lo, v[17:18], v[9:10]
	v_dual_mov_b32 v16, v14 :: v_dual_mov_b32 v15, v13
	s_and_not1_b32 s38, s38, exec_lo
	s_or_not1_b32 s39, vcc_lo, exec_lo
	s_branch .LBB41_23
.LBB41_30:                              ;   in Loop: Header=BB41_18 Depth=2
	s_or_b32 exec_lo, exec_lo, s37
	s_and_saveexec_b32 s5, s36
	s_delay_alu instid0(SALU_CYCLE_1)
	s_xor_b32 s5, exec_lo, s5
; %bb.31:                               ;   in Loop: Header=BB41_18 Depth=2
	v_min_i32_e32 v31, v32, v31
	v_dual_mov_b32 v7, v15 :: v_dual_mov_b32 v8, v16
; %bb.32:                               ;   in Loop: Header=BB41_18 Depth=2
	s_or_b32 exec_lo, exec_lo, s5
.LBB41_33:                              ;   in Loop: Header=BB41_18 Depth=2
	s_delay_alu instid0(SALU_CYCLE_1)
	s_or_b32 exec_lo, exec_lo, s35
	ds_bpermute_b32 v9, v23, v7
	ds_bpermute_b32 v10, v23, v8
	s_waitcnt lgkmcnt(0)
	v_cmp_lt_i64_e32 vcc_lo, v[9:10], v[7:8]
	v_dual_cndmask_b32 v8, v8, v10 :: v_dual_cndmask_b32 v7, v7, v9
	ds_bpermute_b32 v10, v24, v8
	ds_bpermute_b32 v9, v24, v7
	s_waitcnt lgkmcnt(0)
	v_cmp_lt_i64_e32 vcc_lo, v[9:10], v[7:8]
	v_dual_cndmask_b32 v8, v8, v10 :: v_dual_cndmask_b32 v7, v7, v9
	;; [unrolled: 5-line block ×3, first 2 shown]
	ds_bpermute_b32 v10, v26, v8
	ds_bpermute_b32 v9, v26, v7
	s_and_saveexec_b32 s6, s3
	s_cbranch_execz .LBB41_17
; %bb.34:                               ;   in Loop: Header=BB41_18 Depth=2
	s_waitcnt lgkmcnt(0)
	v_cmp_lt_i64_e32 vcc_lo, v[9:10], v[7:8]
	v_add_co_u32 v5, s5, s24, v5
	s_delay_alu instid0(VALU_DEP_1)
	v_add_co_ci_u32_e64 v6, s5, s25, v6, s5
	v_dual_cndmask_b32 v8, v8, v10 :: v_dual_cndmask_b32 v7, v7, v9
	global_store_b64 v[5:6], v[7:8], off
	s_branch .LBB41_17
.LBB41_35:                              ;   in Loop: Header=BB41_18 Depth=2
                                        ; implicit-def: $vgpr11_vgpr12
	s_branch .LBB41_20
.LBB41_36:                              ;   in Loop: Header=BB41_9 Depth=1
	ds_store_b8 v0, v20
	s_or_b32 exec_lo, exec_lo, s4
	s_and_saveexec_b32 s4, s33
	s_cbranch_execz .LBB41_11
.LBB41_37:                              ;   in Loop: Header=BB41_9 Depth=1
	ds_store_b8 v0, v20 offset:512
	s_or_b32 exec_lo, exec_lo, s4
	s_and_saveexec_b32 s4, s33
	s_cbranch_execz .LBB41_12
.LBB41_38:                              ;   in Loop: Header=BB41_9 Depth=1
	ds_store_b8 v0, v20 offset:1024
	s_or_b32 exec_lo, exec_lo, s4
	s_and_saveexec_b32 s4, s33
	s_cbranch_execz .LBB41_13
.LBB41_39:                              ;   in Loop: Header=BB41_9 Depth=1
	ds_store_b8 v0, v20 offset:1536
	s_or_b32 exec_lo, exec_lo, s4
	s_and_saveexec_b32 s4, s2
	s_cbranch_execnz .LBB41_14
	s_branch .LBB41_15
.LBB41_40:                              ;   in Loop: Header=BB41_9 Depth=1
	s_or_b32 exec_lo, exec_lo, s34
.LBB41_41:                              ;   in Loop: Header=BB41_9 Depth=1
	s_delay_alu instid0(SALU_CYCLE_1) | instskip(NEXT) | instid1(SALU_CYCLE_1)
	s_or_b32 exec_lo, exec_lo, s7
	s_and_not1_b32 vcc_lo, exec_lo, s29
	s_cbranch_vccnz .LBB41_55
; %bb.42:                               ;   in Loop: Header=BB41_9 Depth=1
	s_load_b128 s[4:7], s[14:15], 0x0
	s_mov_b32 s34, exec_lo
	s_waitcnt lgkmcnt(0)
	v_add_co_u32 v3, vcc_lo, v21, s4
	v_add_co_ci_u32_e32 v4, vcc_lo, s5, v22, vcc_lo
	s_sub_u32 s6, s6, s18
	s_subb_u32 s7, s7, 0
	s_delay_alu instid0(VALU_DEP_1) | instid1(SALU_CYCLE_1)
	v_cmpx_gt_i64_e64 s[6:7], v[3:4]
	s_cbranch_execz .LBB41_54
; %bb.43:                               ;   in Loop: Header=BB41_9 Depth=1
	v_lshlrev_b64 v[5:6], 2, v[3:4]
	s_mov_b32 s35, 0
                                        ; implicit-def: $sgpr36
                                        ; implicit-def: $sgpr37
	s_delay_alu instid0(VALU_DEP_1) | instskip(NEXT) | instid1(VALU_DEP_2)
	v_add_co_u32 v5, vcc_lo, s26, v5
	v_add_co_ci_u32_e32 v6, vcc_lo, s27, v6, vcc_lo
	s_branch .LBB41_45
.LBB41_44:                              ;   in Loop: Header=BB41_45 Depth=2
	s_or_b32 exec_lo, exec_lo, s38
	s_delay_alu instid0(SALU_CYCLE_1) | instskip(NEXT) | instid1(SALU_CYCLE_1)
	s_and_b32 s4, exec_lo, s5
	s_or_b32 s35, s4, s35
	s_and_not1_b32 s4, s36, exec_lo
	s_and_b32 s5, s37, exec_lo
	s_delay_alu instid0(SALU_CYCLE_1)
	s_or_b32 s36, s4, s5
	s_and_not1_b32 exec_lo, exec_lo, s35
	s_cbranch_execz .LBB41_51
.LBB41_45:                              ;   Parent Loop BB41_9 Depth=1
                                        ; =>  This Inner Loop Header: Depth=2
	global_load_b32 v7, v[5:6], off
	s_waitcnt vmcnt(0)
	v_subrev_nc_u32_e32 v7, s18, v7
	s_delay_alu instid0(VALU_DEP_1) | instskip(SKIP_2) | instid1(VALU_DEP_2)
	v_cmp_lt_i32_e64 s4, v7, v29
	v_cmp_ge_i32_e64 s5, v7, v30
	v_cmp_lt_i32_e32 vcc_lo, v7, v30
	s_or_b32 s38, s4, s5
	s_mov_b32 s4, 0
                                        ; implicit-def: $sgpr5
	s_and_saveexec_b32 s39, s38
	s_delay_alu instid0(SALU_CYCLE_1)
	s_xor_b32 s38, exec_lo, s39
; %bb.46:                               ;   in Loop: Header=BB41_45 Depth=2
	s_mov_b32 s5, -1
	s_and_b32 s4, vcc_lo, exec_lo
; %bb.47:                               ;   in Loop: Header=BB41_45 Depth=2
	s_and_not1_saveexec_b32 s38, s38
	s_cbranch_execz .LBB41_49
; %bb.48:                               ;   in Loop: Header=BB41_45 Depth=2
	v_sub_nc_u32_e32 v8, v7, v29
	s_or_b32 s4, s4, exec_lo
	ds_store_b8 v8, v28
.LBB41_49:                              ;   in Loop: Header=BB41_45 Depth=2
	s_or_b32 exec_lo, exec_lo, s38
	s_delay_alu instid0(SALU_CYCLE_1)
	s_and_not1_b32 s37, s37, exec_lo
	s_and_b32 s38, s5, exec_lo
	s_mov_b32 s5, -1
	s_or_b32 s37, s37, s38
	s_and_saveexec_b32 s38, s4
	s_cbranch_execz .LBB41_44
; %bb.50:                               ;   in Loop: Header=BB41_45 Depth=2
	v_add_co_u32 v3, vcc_lo, 0x200, v3
	v_add_co_ci_u32_e32 v4, vcc_lo, 0, v4, vcc_lo
	v_add_co_u32 v5, s4, 0x800, v5
	s_delay_alu instid0(VALU_DEP_1) | instskip(NEXT) | instid1(VALU_DEP_3)
	v_add_co_ci_u32_e64 v6, s4, 0, v6, s4
	v_cmp_le_i64_e32 vcc_lo, s[6:7], v[3:4]
	s_and_not1_b32 s37, s37, exec_lo
	s_or_not1_b32 s5, vcc_lo, exec_lo
	s_branch .LBB41_44
.LBB41_51:                              ;   in Loop: Header=BB41_9 Depth=1
	s_or_b32 exec_lo, exec_lo, s35
	s_and_saveexec_b32 s4, s36
	s_delay_alu instid0(SALU_CYCLE_1)
	s_xor_b32 s4, exec_lo, s4
; %bb.52:                               ;   in Loop: Header=BB41_9 Depth=1
	v_min_i32_e32 v31, v7, v31
; %bb.53:                               ;   in Loop: Header=BB41_9 Depth=1
	s_or_b32 exec_lo, exec_lo, s4
.LBB41_54:                              ;   in Loop: Header=BB41_9 Depth=1
	s_delay_alu instid0(SALU_CYCLE_1)
	s_or_b32 exec_lo, exec_lo, s34
.LBB41_55:                              ;   in Loop: Header=BB41_9 Depth=1
	ds_bpermute_b32 v3, v23, v31
	s_waitcnt lgkmcnt(0)
	v_min_i32_e32 v3, v3, v31
	ds_bpermute_b32 v4, v24, v3
	s_waitcnt lgkmcnt(0)
	v_min_i32_e32 v3, v4, v3
	;; [unrolled: 3-line block ×3, first 2 shown]
	ds_bpermute_b32 v4, v26, v3
	s_and_saveexec_b32 s4, s3
	s_cbranch_execz .LBB41_60
; %bb.56:                               ;   in Loop: Header=BB41_9 Depth=1
	s_waitcnt lgkmcnt(0)
	v_min_i32_e32 v3, v4, v3
	s_mov_b32 s6, exec_lo
	s_brev_b32 s5, -2
.LBB41_57:                              ;   Parent Loop BB41_9 Depth=1
                                        ; =>  This Inner Loop Header: Depth=2
	s_ctz_i32_b32 s7, s6
	s_delay_alu instid0(VALU_DEP_1) | instid1(SALU_CYCLE_1)
	v_readlane_b32 s34, v3, s7
	s_lshl_b32 s7, 1, s7
	s_delay_alu instid0(SALU_CYCLE_1) | instskip(NEXT) | instid1(VALU_DEP_1)
	s_and_not1_b32 s6, s6, s7
	s_min_i32 s5, s5, s34
	s_cmp_lg_u32 s6, 0
	s_cbranch_scc1 .LBB41_57
; %bb.58:                               ;   in Loop: Header=BB41_9 Depth=1
	v_mbcnt_lo_u32_b32 v3, exec_lo, 0
	s_mov_b32 s6, exec_lo
	s_delay_alu instid0(VALU_DEP_1)
	v_cmpx_eq_u32_e32 0, v3
	s_xor_b32 s6, exec_lo, s6
	s_cbranch_execz .LBB41_60
; %bb.59:                               ;   in Loop: Header=BB41_9 Depth=1
	v_mov_b32_e32 v3, s5
	ds_min_i32 v20, v3 offset:2048
.LBB41_60:                              ;   in Loop: Header=BB41_9 Depth=1
	s_or_b32 exec_lo, exec_lo, s4
	s_waitcnt lgkmcnt(0)
	v_dual_mov_b32 v3, 0 :: v_dual_mov_b32 v4, v27
	s_mov_b32 s4, 0
	s_waitcnt_vscnt null, 0x0
	s_barrier
	buffer_gl0_inv
.LBB41_61:                              ;   Parent Loop BB41_9 Depth=1
                                        ; =>  This Inner Loop Header: Depth=2
	ds_load_u8 v5, v4 offset:512
	v_add_nc_u32_e32 v4, 0x200, v4
	s_delay_alu instid0(VALU_DEP_1)
	v_cmp_lt_u32_e32 vcc_lo, 0x5ff, v4
	s_or_b32 s4, vcc_lo, s4
	s_waitcnt lgkmcnt(0)
	v_add_nc_u32_e32 v3, v3, v5
	s_and_not1_b32 exec_lo, exec_lo, s4
	s_cbranch_execnz .LBB41_61
; %bb.62:                               ;   in Loop: Header=BB41_9 Depth=1
	s_or_b32 exec_lo, exec_lo, s4
	ds_bpermute_b32 v4, v23, v3
	s_waitcnt lgkmcnt(0)
	v_add_nc_u32_e32 v3, v4, v3
	ds_bpermute_b32 v4, v24, v3
	s_waitcnt lgkmcnt(0)
	v_add_nc_u32_e32 v3, v4, v3
	;; [unrolled: 3-line block ×3, first 2 shown]
	ds_bpermute_b32 v4, v26, v3
	s_and_saveexec_b32 s4, s3
	s_cbranch_execz .LBB41_8
; %bb.63:                               ;   in Loop: Header=BB41_9 Depth=1
	s_waitcnt lgkmcnt(0)
	v_add_nc_u32_e32 v3, v4, v3
	s_mov_b32 s6, exec_lo
	s_mov_b32 s5, 0
.LBB41_64:                              ;   Parent Loop BB41_9 Depth=1
                                        ; =>  This Inner Loop Header: Depth=2
	s_ctz_i32_b32 s7, s6
	s_delay_alu instid0(VALU_DEP_1) | instid1(SALU_CYCLE_1)
	v_readlane_b32 s34, v3, s7
	s_lshl_b32 s7, 1, s7
	s_delay_alu instid0(SALU_CYCLE_1) | instskip(NEXT) | instid1(VALU_DEP_1)
	s_and_not1_b32 s6, s6, s7
	s_add_i32 s5, s5, s34
	s_cmp_lg_u32 s6, 0
	s_cbranch_scc1 .LBB41_64
; %bb.65:                               ;   in Loop: Header=BB41_9 Depth=1
	v_mbcnt_lo_u32_b32 v3, exec_lo, 0
	s_mov_b32 s6, exec_lo
	s_delay_alu instid0(VALU_DEP_1)
	v_cmpx_eq_u32_e32 0, v3
	s_xor_b32 s6, exec_lo, s6
	s_cbranch_execz .LBB41_8
; %bb.66:                               ;   in Loop: Header=BB41_9 Depth=1
	v_mov_b32_e32 v3, s5
	ds_add_u32 v20, v3 offset:2052
	s_branch .LBB41_8
.LBB41_67:
	s_and_saveexec_b32 s3, s2
	s_cbranch_execz .LBB41_69
; %bb.68:
	v_mov_b32_e32 v2, 0
	s_load_b64 s[0:1], s[0:1], 0x48
	s_ashr_i32 s21, s20, 31
	s_delay_alu instid0(SALU_CYCLE_1)
	s_lshl_b64 s[2:3], s[20:21], 3
	ds_load_b32 v0, v2 offset:2052
	s_waitcnt lgkmcnt(0)
	s_add_u32 s0, s0, s2
	s_addc_u32 s1, s1, s3
	v_ashrrev_i32_e32 v1, 31, v0
	global_store_b64 v2, v[0:1], s[0:1]
.LBB41_69:
	s_nop 0
	s_sendmsg sendmsg(MSG_DEALLOC_VGPRS)
	s_endpgm
	.section	.rodata,"a",@progbits
	.p2align	6, 0x0
	.amdhsa_kernel _ZN9rocsparseL35csrgemm_nnz_block_per_row_multipassILj512ELj16ELj2048EliEEvT3_PKS1_S3_PKT2_S3_S6_S3_S6_S3_PS4_S7_21rocsparse_index_base_S8_S8_bb
		.amdhsa_group_segment_fixed_size 2056
		.amdhsa_private_segment_fixed_size 0
		.amdhsa_kernarg_size 104
		.amdhsa_user_sgpr_count 15
		.amdhsa_user_sgpr_dispatch_ptr 0
		.amdhsa_user_sgpr_queue_ptr 0
		.amdhsa_user_sgpr_kernarg_segment_ptr 1
		.amdhsa_user_sgpr_dispatch_id 0
		.amdhsa_user_sgpr_private_segment_size 0
		.amdhsa_wavefront_size32 1
		.amdhsa_uses_dynamic_stack 0
		.amdhsa_enable_private_segment 0
		.amdhsa_system_sgpr_workgroup_id_x 1
		.amdhsa_system_sgpr_workgroup_id_y 0
		.amdhsa_system_sgpr_workgroup_id_z 0
		.amdhsa_system_sgpr_workgroup_info 0
		.amdhsa_system_vgpr_workitem_id 0
		.amdhsa_next_free_vgpr 33
		.amdhsa_next_free_sgpr 41
		.amdhsa_reserve_vcc 1
		.amdhsa_float_round_mode_32 0
		.amdhsa_float_round_mode_16_64 0
		.amdhsa_float_denorm_mode_32 3
		.amdhsa_float_denorm_mode_16_64 3
		.amdhsa_dx10_clamp 1
		.amdhsa_ieee_mode 1
		.amdhsa_fp16_overflow 0
		.amdhsa_workgroup_processor_mode 1
		.amdhsa_memory_ordered 1
		.amdhsa_forward_progress 0
		.amdhsa_shared_vgpr_count 0
		.amdhsa_exception_fp_ieee_invalid_op 0
		.amdhsa_exception_fp_denorm_src 0
		.amdhsa_exception_fp_ieee_div_zero 0
		.amdhsa_exception_fp_ieee_overflow 0
		.amdhsa_exception_fp_ieee_underflow 0
		.amdhsa_exception_fp_ieee_inexact 0
		.amdhsa_exception_int_div_zero 0
	.end_amdhsa_kernel
	.section	.text._ZN9rocsparseL35csrgemm_nnz_block_per_row_multipassILj512ELj16ELj2048EliEEvT3_PKS1_S3_PKT2_S3_S6_S3_S6_S3_PS4_S7_21rocsparse_index_base_S8_S8_bb,"axG",@progbits,_ZN9rocsparseL35csrgemm_nnz_block_per_row_multipassILj512ELj16ELj2048EliEEvT3_PKS1_S3_PKT2_S3_S6_S3_S6_S3_PS4_S7_21rocsparse_index_base_S8_S8_bb,comdat
.Lfunc_end41:
	.size	_ZN9rocsparseL35csrgemm_nnz_block_per_row_multipassILj512ELj16ELj2048EliEEvT3_PKS1_S3_PKT2_S3_S6_S3_S6_S3_PS4_S7_21rocsparse_index_base_S8_S8_bb, .Lfunc_end41-_ZN9rocsparseL35csrgemm_nnz_block_per_row_multipassILj512ELj16ELj2048EliEEvT3_PKS1_S3_PKT2_S3_S6_S3_S6_S3_PS4_S7_21rocsparse_index_base_S8_S8_bb
                                        ; -- End function
	.section	.AMDGPU.csdata,"",@progbits
; Kernel info:
; codeLenInByte = 2432
; NumSgprs: 43
; NumVgprs: 33
; ScratchSize: 0
; MemoryBound: 0
; FloatMode: 240
; IeeeMode: 1
; LDSByteSize: 2056 bytes/workgroup (compile time only)
; SGPRBlocks: 5
; VGPRBlocks: 4
; NumSGPRsForWavesPerEU: 43
; NumVGPRsForWavesPerEU: 33
; Occupancy: 16
; WaveLimiterHint : 1
; COMPUTE_PGM_RSRC2:SCRATCH_EN: 0
; COMPUTE_PGM_RSRC2:USER_SGPR: 15
; COMPUTE_PGM_RSRC2:TRAP_HANDLER: 0
; COMPUTE_PGM_RSRC2:TGID_X_EN: 1
; COMPUTE_PGM_RSRC2:TGID_Y_EN: 0
; COMPUTE_PGM_RSRC2:TGID_Z_EN: 0
; COMPUTE_PGM_RSRC2:TIDIG_COMP_CNT: 0
	.section	.text._ZN9rocsparseL18csrgemm_index_baseILj1ElEEvPT0_,"axG",@progbits,_ZN9rocsparseL18csrgemm_index_baseILj1ElEEvPT0_,comdat
	.globl	_ZN9rocsparseL18csrgemm_index_baseILj1ElEEvPT0_ ; -- Begin function _ZN9rocsparseL18csrgemm_index_baseILj1ElEEvPT0_
	.p2align	8
	.type	_ZN9rocsparseL18csrgemm_index_baseILj1ElEEvPT0_,@function
_ZN9rocsparseL18csrgemm_index_baseILj1ElEEvPT0_: ; @_ZN9rocsparseL18csrgemm_index_baseILj1ElEEvPT0_
; %bb.0:
	s_load_b64 s[0:1], s[0:1], 0x0
	s_waitcnt lgkmcnt(0)
	s_load_b64 s[2:3], s[0:1], 0x0
	s_waitcnt lgkmcnt(0)
	s_add_u32 s2, s2, -1
	s_addc_u32 s3, s3, -1
	v_mov_b32_e32 v0, s2
	v_dual_mov_b32 v2, 0 :: v_dual_mov_b32 v1, s3
	global_store_b64 v2, v[0:1], s[0:1]
	s_nop 0
	s_sendmsg sendmsg(MSG_DEALLOC_VGPRS)
	s_endpgm
	.section	.rodata,"a",@progbits
	.p2align	6, 0x0
	.amdhsa_kernel _ZN9rocsparseL18csrgemm_index_baseILj1ElEEvPT0_
		.amdhsa_group_segment_fixed_size 0
		.amdhsa_private_segment_fixed_size 0
		.amdhsa_kernarg_size 8
		.amdhsa_user_sgpr_count 15
		.amdhsa_user_sgpr_dispatch_ptr 0
		.amdhsa_user_sgpr_queue_ptr 0
		.amdhsa_user_sgpr_kernarg_segment_ptr 1
		.amdhsa_user_sgpr_dispatch_id 0
		.amdhsa_user_sgpr_private_segment_size 0
		.amdhsa_wavefront_size32 1
		.amdhsa_uses_dynamic_stack 0
		.amdhsa_enable_private_segment 0
		.amdhsa_system_sgpr_workgroup_id_x 1
		.amdhsa_system_sgpr_workgroup_id_y 0
		.amdhsa_system_sgpr_workgroup_id_z 0
		.amdhsa_system_sgpr_workgroup_info 0
		.amdhsa_system_vgpr_workitem_id 0
		.amdhsa_next_free_vgpr 3
		.amdhsa_next_free_sgpr 4
		.amdhsa_reserve_vcc 0
		.amdhsa_float_round_mode_32 0
		.amdhsa_float_round_mode_16_64 0
		.amdhsa_float_denorm_mode_32 3
		.amdhsa_float_denorm_mode_16_64 3
		.amdhsa_dx10_clamp 1
		.amdhsa_ieee_mode 1
		.amdhsa_fp16_overflow 0
		.amdhsa_workgroup_processor_mode 1
		.amdhsa_memory_ordered 1
		.amdhsa_forward_progress 0
		.amdhsa_shared_vgpr_count 0
		.amdhsa_exception_fp_ieee_invalid_op 0
		.amdhsa_exception_fp_denorm_src 0
		.amdhsa_exception_fp_ieee_div_zero 0
		.amdhsa_exception_fp_ieee_overflow 0
		.amdhsa_exception_fp_ieee_underflow 0
		.amdhsa_exception_fp_ieee_inexact 0
		.amdhsa_exception_int_div_zero 0
	.end_amdhsa_kernel
	.section	.text._ZN9rocsparseL18csrgemm_index_baseILj1ElEEvPT0_,"axG",@progbits,_ZN9rocsparseL18csrgemm_index_baseILj1ElEEvPT0_,comdat
.Lfunc_end42:
	.size	_ZN9rocsparseL18csrgemm_index_baseILj1ElEEvPT0_, .Lfunc_end42-_ZN9rocsparseL18csrgemm_index_baseILj1ElEEvPT0_
                                        ; -- End function
	.section	.AMDGPU.csdata,"",@progbits
; Kernel info:
; codeLenInByte = 64
; NumSgprs: 4
; NumVgprs: 3
; ScratchSize: 0
; MemoryBound: 0
; FloatMode: 240
; IeeeMode: 1
; LDSByteSize: 0 bytes/workgroup (compile time only)
; SGPRBlocks: 0
; VGPRBlocks: 0
; NumSGPRsForWavesPerEU: 4
; NumVGPRsForWavesPerEU: 3
; Occupancy: 16
; WaveLimiterHint : 0
; COMPUTE_PGM_RSRC2:SCRATCH_EN: 0
; COMPUTE_PGM_RSRC2:USER_SGPR: 15
; COMPUTE_PGM_RSRC2:TRAP_HANDLER: 0
; COMPUTE_PGM_RSRC2:TGID_X_EN: 1
; COMPUTE_PGM_RSRC2:TGID_Y_EN: 0
; COMPUTE_PGM_RSRC2:TGID_Z_EN: 0
; COMPUTE_PGM_RSRC2:TIDIG_COMP_CNT: 0
	.section	.text._ZN9rocsparseL29csrgemm_intermediate_productsILj256ELj8EllEEvT2_PKT1_PKS1_S4_S4_PS2_21rocsparse_index_base_bb,"axG",@progbits,_ZN9rocsparseL29csrgemm_intermediate_productsILj256ELj8EllEEvT2_PKT1_PKS1_S4_S4_PS2_21rocsparse_index_base_bb,comdat
	.globl	_ZN9rocsparseL29csrgemm_intermediate_productsILj256ELj8EllEEvT2_PKT1_PKS1_S4_S4_PS2_21rocsparse_index_base_bb ; -- Begin function _ZN9rocsparseL29csrgemm_intermediate_productsILj256ELj8EllEEvT2_PKT1_PKS1_S4_S4_PS2_21rocsparse_index_base_bb
	.p2align	8
	.type	_ZN9rocsparseL29csrgemm_intermediate_productsILj256ELj8EllEEvT2_PKT1_PKS1_S4_S4_PS2_21rocsparse_index_base_bb,@function
_ZN9rocsparseL29csrgemm_intermediate_productsILj256ELj8EllEEvT2_PKT1_PKS1_S4_S4_PS2_21rocsparse_index_base_bb: ; @_ZN9rocsparseL29csrgemm_intermediate_productsILj256ELj8EllEEvT2_PKT1_PKS1_S4_S4_PS2_21rocsparse_index_base_bb
; %bb.0:
	s_load_b64 s[2:3], s[0:1], 0x0
	v_lshl_or_b32 v1, s15, 8, v0
	v_mov_b32_e32 v3, 0
	s_delay_alu instid0(VALU_DEP_2) | instskip(SKIP_1) | instid1(VALU_DEP_1)
	v_lshrrev_b32_e32 v2, 3, v1
	s_waitcnt lgkmcnt(0)
	v_cmp_gt_i64_e32 vcc_lo, s[2:3], v[2:3]
	s_and_saveexec_b32 s2, vcc_lo
	s_cbranch_execz .LBB43_11
; %bb.1:
	s_clause 0x1
	s_load_b64 s[12:13], s[0:1], 0x30
	s_load_b128 s[4:7], s[0:1], 0x20
	v_dual_mov_b32 v0, 0 :: v_dual_and_b32 v9, 7, v0
	v_dual_mov_b32 v1, 0 :: v_dual_lshlrev_b32 v8, 3, v2
	s_waitcnt lgkmcnt(0)
	s_bitcmp0_b32 s13, 0
	s_cbranch_scc1 .LBB43_7
; %bb.2:
	s_load_b64 s[2:3], s[0:1], 0x8
	s_waitcnt lgkmcnt(0)
	global_load_b128 v[0:3], v8, s[2:3]
	v_sub_co_u32 v4, s2, v9, s12
	s_delay_alu instid0(VALU_DEP_1)
	v_sub_co_ci_u32_e64 v5, null, 0, 0, s2
	s_mov_b32 s3, exec_lo
	s_waitcnt vmcnt(0)
	v_sub_co_u32 v2, vcc_lo, v2, s12
	v_subrev_co_ci_u32_e32 v3, vcc_lo, 0, v3, vcc_lo
	v_add_co_u32 v4, vcc_lo, v4, v0
	v_add_co_ci_u32_e32 v5, vcc_lo, v5, v1, vcc_lo
	v_mov_b32_e32 v0, 0
	v_mov_b32_e32 v1, 0
	s_delay_alu instid0(VALU_DEP_3)
	v_cmpx_lt_i64_e64 v[4:5], v[2:3]
	s_cbranch_execz .LBB43_6
; %bb.3:
	s_load_b128 s[8:11], s[0:1], 0x10
	v_lshlrev_b64 v[6:7], 3, v[4:5]
	v_mov_b32_e32 v0, 0
	v_mov_b32_e32 v1, 0
	s_waitcnt lgkmcnt(0)
	s_delay_alu instid0(VALU_DEP_3) | instskip(NEXT) | instid1(VALU_DEP_4)
	v_add_co_u32 v6, vcc_lo, s8, v6
	v_add_co_ci_u32_e32 v7, vcc_lo, s9, v7, vcc_lo
	s_mov_b32 s8, 0
	.p2align	6
.LBB43_4:                               ; =>This Inner Loop Header: Depth=1
	global_load_b64 v[10:11], v[6:7], off
	s_waitcnt vmcnt(0)
	v_sub_co_u32 v10, vcc_lo, v10, s12
	v_subrev_co_ci_u32_e32 v11, vcc_lo, 0, v11, vcc_lo
	s_delay_alu instid0(VALU_DEP_1) | instskip(NEXT) | instid1(VALU_DEP_1)
	v_lshlrev_b64 v[10:11], 3, v[10:11]
	v_add_co_u32 v10, vcc_lo, s10, v10
	s_delay_alu instid0(VALU_DEP_2)
	v_add_co_ci_u32_e32 v11, vcc_lo, s11, v11, vcc_lo
	v_add_co_u32 v4, vcc_lo, v4, 8
	v_add_co_ci_u32_e32 v5, vcc_lo, 0, v5, vcc_lo
	global_load_b128 v[10:13], v[10:11], off
	v_add_co_u32 v6, vcc_lo, v6, 64
	v_add_co_ci_u32_e32 v7, vcc_lo, 0, v7, vcc_lo
	s_waitcnt vmcnt(0)
	v_add_co_u32 v0, vcc_lo, v12, v0
	v_add_co_ci_u32_e32 v1, vcc_lo, v13, v1, vcc_lo
	v_cmp_ge_i64_e32 vcc_lo, v[4:5], v[2:3]
	s_delay_alu instid0(VALU_DEP_3) | instskip(NEXT) | instid1(VALU_DEP_1)
	v_sub_co_u32 v0, s2, v0, v10
	v_sub_co_ci_u32_e64 v1, s2, v1, v11, s2
	s_or_b32 s8, vcc_lo, s8
	s_delay_alu instid0(SALU_CYCLE_1)
	s_and_not1_b32 exec_lo, exec_lo, s8
	s_cbranch_execnz .LBB43_4
; %bb.5:
	s_or_b32 exec_lo, exec_lo, s8
.LBB43_6:
	s_delay_alu instid0(SALU_CYCLE_1) | instskip(SKIP_1) | instid1(VALU_DEP_1)
	s_or_b32 exec_lo, exec_lo, s3
	v_mbcnt_lo_u32_b32 v2, -1, 0
	v_xor_b32_e32 v3, 4, v2
	v_xor_b32_e32 v5, 2, v2
	s_delay_alu instid0(VALU_DEP_2) | instskip(SKIP_1) | instid1(VALU_DEP_3)
	v_cmp_gt_i32_e32 vcc_lo, 32, v3
	v_cndmask_b32_e32 v3, v2, v3, vcc_lo
	v_cmp_gt_i32_e32 vcc_lo, 32, v5
	s_delay_alu instid0(VALU_DEP_2)
	v_lshlrev_b32_e32 v3, 2, v3
	v_cndmask_b32_e32 v5, v2, v5, vcc_lo
	ds_bpermute_b32 v4, v3, v0
	ds_bpermute_b32 v3, v3, v1
	v_lshlrev_b32_e32 v5, 2, v5
	s_waitcnt lgkmcnt(1)
	v_add_co_u32 v0, vcc_lo, v0, v4
	v_add_co_ci_u32_e32 v1, vcc_lo, 0, v1, vcc_lo
	ds_bpermute_b32 v4, v5, v0
	v_add_co_u32 v0, vcc_lo, 0, v0
	s_waitcnt lgkmcnt(1)
	v_add_co_ci_u32_e32 v1, vcc_lo, v3, v1, vcc_lo
	v_xor_b32_e32 v3, 1, v2
	s_delay_alu instid0(VALU_DEP_1)
	v_cmp_gt_i32_e32 vcc_lo, 32, v3
	v_cndmask_b32_e32 v2, v2, v3, vcc_lo
	ds_bpermute_b32 v5, v5, v1
	v_lshlrev_b32_e32 v2, 2, v2
	s_waitcnt lgkmcnt(1)
	v_add_co_u32 v0, vcc_lo, v0, v4
	v_add_co_ci_u32_e32 v1, vcc_lo, 0, v1, vcc_lo
	ds_bpermute_b32 v3, v2, v0
	v_add_co_u32 v0, vcc_lo, v0, 0
	s_waitcnt lgkmcnt(1)
	v_add_co_ci_u32_e32 v1, vcc_lo, v1, v5, vcc_lo
	ds_bpermute_b32 v2, v2, v1
	s_waitcnt lgkmcnt(1)
	v_add_co_u32 v0, vcc_lo, v0, v3
	v_add_co_ci_u32_e32 v1, vcc_lo, 0, v1, vcc_lo
	s_delay_alu instid0(VALU_DEP_2) | instskip(SKIP_1) | instid1(VALU_DEP_2)
	v_add_co_u32 v0, vcc_lo, v0, 0
	s_waitcnt lgkmcnt(0)
	v_add_co_ci_u32_e32 v1, vcc_lo, v1, v2, vcc_lo
.LBB43_7:
	v_cmp_eq_u32_e32 vcc_lo, 7, v9
	s_and_b32 exec_lo, exec_lo, vcc_lo
	s_cbranch_execz .LBB43_11
; %bb.8:
	s_load_b32 s0, s[0:1], 0x34
	s_waitcnt lgkmcnt(0)
	s_bfe_u32 s0, s0, 0x10008
	s_delay_alu instid0(SALU_CYCLE_1)
	s_cmp_eq_u32 s0, 0
	s_cbranch_scc1 .LBB43_10
; %bb.9:
	global_load_b128 v[2:5], v8, s[4:5]
	s_waitcnt vmcnt(0)
	v_add_co_u32 v0, vcc_lo, v4, v0
	v_add_co_ci_u32_e32 v1, vcc_lo, v5, v1, vcc_lo
	s_delay_alu instid0(VALU_DEP_2) | instskip(NEXT) | instid1(VALU_DEP_2)
	v_sub_co_u32 v0, vcc_lo, v0, v2
	v_sub_co_ci_u32_e32 v1, vcc_lo, v1, v3, vcc_lo
.LBB43_10:
	global_store_b64 v8, v[0:1], s[6:7]
.LBB43_11:
	s_nop 0
	s_sendmsg sendmsg(MSG_DEALLOC_VGPRS)
	s_endpgm
	.section	.rodata,"a",@progbits
	.p2align	6, 0x0
	.amdhsa_kernel _ZN9rocsparseL29csrgemm_intermediate_productsILj256ELj8EllEEvT2_PKT1_PKS1_S4_S4_PS2_21rocsparse_index_base_bb
		.amdhsa_group_segment_fixed_size 0
		.amdhsa_private_segment_fixed_size 0
		.amdhsa_kernarg_size 56
		.amdhsa_user_sgpr_count 15
		.amdhsa_user_sgpr_dispatch_ptr 0
		.amdhsa_user_sgpr_queue_ptr 0
		.amdhsa_user_sgpr_kernarg_segment_ptr 1
		.amdhsa_user_sgpr_dispatch_id 0
		.amdhsa_user_sgpr_private_segment_size 0
		.amdhsa_wavefront_size32 1
		.amdhsa_uses_dynamic_stack 0
		.amdhsa_enable_private_segment 0
		.amdhsa_system_sgpr_workgroup_id_x 1
		.amdhsa_system_sgpr_workgroup_id_y 0
		.amdhsa_system_sgpr_workgroup_id_z 0
		.amdhsa_system_sgpr_workgroup_info 0
		.amdhsa_system_vgpr_workitem_id 0
		.amdhsa_next_free_vgpr 14
		.amdhsa_next_free_sgpr 16
		.amdhsa_reserve_vcc 1
		.amdhsa_float_round_mode_32 0
		.amdhsa_float_round_mode_16_64 0
		.amdhsa_float_denorm_mode_32 3
		.amdhsa_float_denorm_mode_16_64 3
		.amdhsa_dx10_clamp 1
		.amdhsa_ieee_mode 1
		.amdhsa_fp16_overflow 0
		.amdhsa_workgroup_processor_mode 1
		.amdhsa_memory_ordered 1
		.amdhsa_forward_progress 0
		.amdhsa_shared_vgpr_count 0
		.amdhsa_exception_fp_ieee_invalid_op 0
		.amdhsa_exception_fp_denorm_src 0
		.amdhsa_exception_fp_ieee_div_zero 0
		.amdhsa_exception_fp_ieee_overflow 0
		.amdhsa_exception_fp_ieee_underflow 0
		.amdhsa_exception_fp_ieee_inexact 0
		.amdhsa_exception_int_div_zero 0
	.end_amdhsa_kernel
	.section	.text._ZN9rocsparseL29csrgemm_intermediate_productsILj256ELj8EllEEvT2_PKT1_PKS1_S4_S4_PS2_21rocsparse_index_base_bb,"axG",@progbits,_ZN9rocsparseL29csrgemm_intermediate_productsILj256ELj8EllEEvT2_PKT1_PKS1_S4_S4_PS2_21rocsparse_index_base_bb,comdat
.Lfunc_end43:
	.size	_ZN9rocsparseL29csrgemm_intermediate_productsILj256ELj8EllEEvT2_PKT1_PKS1_S4_S4_PS2_21rocsparse_index_base_bb, .Lfunc_end43-_ZN9rocsparseL29csrgemm_intermediate_productsILj256ELj8EllEEvT2_PKT1_PKS1_S4_S4_PS2_21rocsparse_index_base_bb
                                        ; -- End function
	.section	.AMDGPU.csdata,"",@progbits
; Kernel info:
; codeLenInByte = 708
; NumSgprs: 18
; NumVgprs: 14
; ScratchSize: 0
; MemoryBound: 1
; FloatMode: 240
; IeeeMode: 1
; LDSByteSize: 0 bytes/workgroup (compile time only)
; SGPRBlocks: 2
; VGPRBlocks: 1
; NumSGPRsForWavesPerEU: 18
; NumVGPRsForWavesPerEU: 14
; Occupancy: 16
; WaveLimiterHint : 1
; COMPUTE_PGM_RSRC2:SCRATCH_EN: 0
; COMPUTE_PGM_RSRC2:USER_SGPR: 15
; COMPUTE_PGM_RSRC2:TRAP_HANDLER: 0
; COMPUTE_PGM_RSRC2:TGID_X_EN: 1
; COMPUTE_PGM_RSRC2:TGID_Y_EN: 0
; COMPUTE_PGM_RSRC2:TGID_Z_EN: 0
; COMPUTE_PGM_RSRC2:TIDIG_COMP_CNT: 0
	.section	.text._ZN9rocsparseL26csrgemm_group_reduce_part1ILj256ELj11EllEEvT2_PT1_PS1_j,"axG",@progbits,_ZN9rocsparseL26csrgemm_group_reduce_part1ILj256ELj11EllEEvT2_PT1_PS1_j,comdat
	.globl	_ZN9rocsparseL26csrgemm_group_reduce_part1ILj256ELj11EllEEvT2_PT1_PS1_j ; -- Begin function _ZN9rocsparseL26csrgemm_group_reduce_part1ILj256ELj11EllEEvT2_PT1_PS1_j
	.p2align	8
	.type	_ZN9rocsparseL26csrgemm_group_reduce_part1ILj256ELj11EllEEvT2_PT1_PS1_j,@function
_ZN9rocsparseL26csrgemm_group_reduce_part1ILj256ELj11EllEEvT2_PT1_PS1_j: ; @_ZN9rocsparseL26csrgemm_group_reduce_part1ILj256ELj11EllEEvT2_PT1_PS1_j
; %bb.0:
	s_clause 0x1
	s_load_b64 s[4:5], s[0:1], 0x0
	s_load_b64 s[2:3], s[0:1], 0x10
	v_mul_u32_u24_e32 v1, 11, v0
	v_mov_b32_e32 v2, 0
	s_mov_b32 s7, 0
	v_lshl_or_b32 v7, s15, 8, v0
	s_mov_b32 s6, s7
	v_lshlrev_b32_e32 v11, 3, v1
	v_mov_b32_e32 v1, v2
	s_mov_b32 s8, s7
	s_mov_b32 s9, s7
	v_mov_b32_e32 v3, s6
	v_dual_mov_b32 v5, s8 :: v_dual_mov_b32 v6, s9
	v_mov_b32_e32 v4, s7
	ds_store_b64 v11, v[1:2] offset:80
	v_mov_b32_e32 v1, v7
	s_mov_b32 s10, exec_lo
	ds_store_2addr_b64 v11, v[3:4], v[5:6] offset0:8 offset1:9
	ds_store_2addr_b64 v11, v[3:4], v[5:6] offset1:1
	ds_store_2addr_b64 v11, v[3:4], v[5:6] offset0:2 offset1:3
	ds_store_2addr_b64 v11, v[3:4], v[5:6] offset0:4 offset1:5
	;; [unrolled: 1-line block ×3, first 2 shown]
	s_waitcnt lgkmcnt(0)
	buffer_gl0_inv
	v_cmpx_gt_i64_e64 s[4:5], v[1:2]
	s_cbranch_execz .LBB44_21
; %bb.1:
	s_clause 0x2
	s_load_b32 s6, s[0:1], 0x18
	s_load_b64 s[8:9], s[0:1], 0x8
	s_load_b32 s0, s[0:1], 0x20
	v_lshlrev_b64 v[5:6], 3, v[1:2]
	v_dual_mov_b32 v4, v2 :: v_dual_add_nc_u32 v13, 32, v11
	v_dual_mov_b32 v3, v1 :: v_dual_add_nc_u32 v12, 16, v11
	v_add_nc_u32_e32 v14, 48, v11
	v_add_nc_u32_e32 v15, 64, v11
	v_add_nc_u32_e32 v16, 0x50, v11
	v_add_nc_u32_e32 v17, 8, v11
	v_add_nc_u32_e32 v18, 24, v11
	v_add_nc_u32_e32 v19, 40, v11
	v_add_nc_u32_e32 v20, 56, v11
	v_add_nc_u32_e32 v21, 0x48, v11
	s_waitcnt lgkmcnt(0)
	s_cmp_lt_u32 s6, 0x20000
	v_add_co_u32 v5, vcc_lo, s8, v5
	s_cselect_b32 s1, -1, 0
	s_cmp_lt_u32 s6, 0x40000
	v_add_co_ci_u32_e32 v6, vcc_lo, s9, v6, vcc_lo
	s_cselect_b32 s11, -1, 0
	s_cmp_lt_u32 s6, 0x80000
	s_cselect_b32 s12, -1, 0
	s_lshl_b32 s6, s0, 8
	s_delay_alu instid0(SALU_CYCLE_1)
	s_lshl_b64 s[8:9], s[6:7], 3
	s_branch .LBB44_11
.LBB44_2:                               ;   in Loop: Header=BB44_11 Depth=1
	s_or_b32 exec_lo, exec_lo, s21
.LBB44_3:                               ;   in Loop: Header=BB44_11 Depth=1
	s_delay_alu instid0(SALU_CYCLE_1)
	s_or_b32 exec_lo, exec_lo, s20
.LBB44_4:                               ;   in Loop: Header=BB44_11 Depth=1
	s_delay_alu instid0(SALU_CYCLE_1)
	s_or_b32 exec_lo, exec_lo, s19
.LBB44_5:                               ;   in Loop: Header=BB44_11 Depth=1
	s_delay_alu instid0(SALU_CYCLE_1)
	s_or_b32 exec_lo, exec_lo, s18
.LBB44_6:                               ;   in Loop: Header=BB44_11 Depth=1
	s_delay_alu instid0(SALU_CYCLE_1)
	s_or_b32 exec_lo, exec_lo, s17
.LBB44_7:                               ;   in Loop: Header=BB44_11 Depth=1
	s_delay_alu instid0(SALU_CYCLE_1)
	s_or_b32 exec_lo, exec_lo, s16
.LBB44_8:                               ;   in Loop: Header=BB44_11 Depth=1
	s_delay_alu instid0(SALU_CYCLE_1)
	s_or_b32 exec_lo, exec_lo, s14
.LBB44_9:                               ;   in Loop: Header=BB44_11 Depth=1
	s_delay_alu instid0(SALU_CYCLE_1)
	s_or_b32 exec_lo, exec_lo, s13
.LBB44_10:                              ;   in Loop: Header=BB44_11 Depth=1
	s_delay_alu instid0(SALU_CYCLE_1)
	s_or_b32 exec_lo, exec_lo, s0
	ds_load_b64 v[9:10], v22
	v_add_co_u32 v3, vcc_lo, v3, s6
	v_add_co_ci_u32_e32 v4, vcc_lo, 0, v4, vcc_lo
	global_store_b64 v[5:6], v[7:8], off
	v_cmp_le_i64_e32 vcc_lo, s[4:5], v[3:4]
	s_or_b32 s7, vcc_lo, s7
	s_waitcnt lgkmcnt(0)
	v_add_co_u32 v7, s0, v9, 1
	s_delay_alu instid0(VALU_DEP_1) | instskip(SKIP_1) | instid1(VALU_DEP_1)
	v_add_co_ci_u32_e64 v8, s0, 0, v10, s0
	v_add_co_u32 v5, s0, v5, s8
	v_add_co_ci_u32_e64 v6, s0, s9, v6, s0
	ds_store_b64 v22, v[7:8]
	s_and_not1_b32 exec_lo, exec_lo, s7
	s_cbranch_execz .LBB44_21
.LBB44_11:                              ; =>This Inner Loop Header: Depth=1
	global_load_b64 v[9:10], v[5:6], off
	v_dual_mov_b32 v7, 0 :: v_dual_mov_b32 v22, v11
	v_mov_b32_e32 v8, 0
	s_mov_b32 s0, exec_lo
	s_waitcnt vmcnt(0)
	v_cmpx_lt_i64_e32 32, v[9:10]
	s_cbranch_execz .LBB44_10
; %bb.12:                               ;   in Loop: Header=BB44_11 Depth=1
	v_dual_mov_b32 v7, 1 :: v_dual_mov_b32 v22, v17
	v_mov_b32_e32 v8, 0
	s_mov_b32 s13, exec_lo
	v_cmpx_lt_u64_e32 64, v[9:10]
	s_cbranch_execz .LBB44_9
; %bb.13:                               ;   in Loop: Header=BB44_11 Depth=1
	v_dual_mov_b32 v7, 2 :: v_dual_mov_b32 v22, v12
	v_mov_b32_e32 v8, 0
	s_mov_b32 s14, exec_lo
	v_cmpx_lt_u64_e32 0x200, v[9:10]
	;; [unrolled: 6-line block ×6, first 2 shown]
	s_cbranch_execz .LBB44_4
; %bb.18:                               ;   in Loop: Header=BB44_11 Depth=1
	v_cmp_lt_u64_e32 vcc_lo, 0x4000, v[9:10]
	v_dual_mov_b32 v7, 7 :: v_dual_mov_b32 v22, v20
	v_mov_b32_e32 v8, 0
	s_or_b32 s21, s1, vcc_lo
	s_delay_alu instid0(SALU_CYCLE_1)
	s_and_saveexec_b32 s20, s21
	s_cbranch_execz .LBB44_3
; %bb.19:                               ;   in Loop: Header=BB44_11 Depth=1
	v_cmp_lt_u64_e32 vcc_lo, 0x8000, v[9:10]
	v_dual_mov_b32 v7, 8 :: v_dual_mov_b32 v22, v15
	v_mov_b32_e32 v8, 0
	s_or_b32 s22, s11, vcc_lo
	s_delay_alu instid0(SALU_CYCLE_1)
	s_and_saveexec_b32 s21, s22
	s_cbranch_execz .LBB44_2
; %bb.20:                               ;   in Loop: Header=BB44_11 Depth=1
	v_cmp_lt_u64_e32 vcc_lo, 0x10000, v[9:10]
	s_or_b32 vcc_lo, s12, vcc_lo
	s_delay_alu instid0(SALU_CYCLE_1) | instskip(SKIP_1) | instid1(VALU_DEP_2)
	v_cndmask_b32_e64 v1, 9, 10, vcc_lo
	v_cndmask_b32_e32 v22, v21, v16, vcc_lo
	v_dual_mov_b32 v8, v2 :: v_dual_mov_b32 v7, v1
	s_branch .LBB44_2
.LBB44_21:
	s_or_b32 exec_lo, exec_lo, s10
	s_delay_alu instid0(SALU_CYCLE_1)
	s_mov_b32 s0, exec_lo
	s_waitcnt lgkmcnt(0)
	s_waitcnt_vscnt null, 0x0
	s_barrier
	buffer_gl0_inv
	s_barrier
	buffer_gl0_inv
	;; [unrolled: 2-line block ×3, first 2 shown]
	v_cmpx_gt_u32_e32 0x80, v0
	s_cbranch_execz .LBB44_23
; %bb.22:
	v_add_nc_u32_e32 v1, 0x2c00, v11
	v_add_nc_u32_e32 v9, 0x2c10, v11
	;; [unrolled: 1-line block ×4, first 2 shown]
	ds_load_2addr_b64 v[1:4], v1 offset1:1
	ds_load_2addr_b64 v[5:8], v11 offset1:1
	ds_load_2addr_b64 v[12:15], v11 offset0:2 offset1:3
	ds_load_2addr_b64 v[16:19], v9 offset1:1
	v_add_nc_u32_e32 v9, 0x2c20, v11
	ds_load_2addr_b64 v[20:23], v11 offset0:4 offset1:5
	ds_load_2addr_b64 v[24:27], v11 offset0:6 offset1:7
	ds_load_2addr_b64 v[28:31], v9 offset1:1
	ds_load_2addr_b64 v[32:35], v10 offset1:1
	ds_load_2addr_b64 v[36:39], v11 offset0:8 offset1:9
	s_waitcnt lgkmcnt(7)
	v_add_co_u32 v9, vcc_lo, v5, v1
	v_add_co_ci_u32_e32 v10, vcc_lo, v6, v2, vcc_lo
	v_add_co_u32 v40, vcc_lo, v7, v3
	v_add_co_ci_u32_e32 v41, vcc_lo, v8, v4, vcc_lo
	ds_load_2addr_b64 v[1:4], v42 offset1:1
	v_add_nc_u32_e32 v5, 0x50, v11
	s_waitcnt lgkmcnt(6)
	v_add_co_u32 v12, vcc_lo, v12, v16
	v_add_co_ci_u32_e32 v13, vcc_lo, v13, v17, vcc_lo
	v_add_co_u32 v14, vcc_lo, v14, v18
	ds_load_2addr_stride64_b64 v[5:8], v5 offset1:22
	v_add_co_ci_u32_e32 v15, vcc_lo, v15, v19, vcc_lo
	s_waitcnt lgkmcnt(4)
	v_add_co_u32 v16, vcc_lo, v20, v28
	v_add_co_ci_u32_e32 v17, vcc_lo, v21, v29, vcc_lo
	v_add_co_u32 v18, vcc_lo, v22, v30
	v_add_co_ci_u32_e32 v19, vcc_lo, v23, v31, vcc_lo
	s_waitcnt lgkmcnt(3)
	v_add_co_u32 v20, vcc_lo, v24, v32
	v_add_co_ci_u32_e32 v21, vcc_lo, v25, v33, vcc_lo
	v_add_co_u32 v22, vcc_lo, v26, v34
	;; [unrolled: 5-line block ×3, first 2 shown]
	v_add_co_ci_u32_e32 v4, vcc_lo, v39, v4, vcc_lo
	s_waitcnt lgkmcnt(0)
	v_add_co_u32 v5, vcc_lo, v5, v7
	v_add_co_ci_u32_e32 v6, vcc_lo, v6, v8, vcc_lo
	ds_store_2addr_b64 v11, v[9:10], v[40:41] offset1:1
	ds_store_2addr_b64 v11, v[12:13], v[14:15] offset0:2 offset1:3
	ds_store_2addr_b64 v11, v[16:17], v[18:19] offset0:4 offset1:5
	;; [unrolled: 1-line block ×4, first 2 shown]
	ds_store_b64 v11, v[5:6] offset:80
.LBB44_23:
	s_or_b32 exec_lo, exec_lo, s0
	s_delay_alu instid0(SALU_CYCLE_1)
	s_mov_b32 s0, exec_lo
	s_waitcnt lgkmcnt(0)
	s_barrier
	buffer_gl0_inv
	v_cmpx_gt_u32_e32 64, v0
	s_cbranch_execz .LBB44_25
; %bb.24:
	v_add_nc_u32_e32 v1, 0x1600, v11
	v_add_nc_u32_e32 v9, 0x1610, v11
	v_add_nc_u32_e32 v10, 0x1630, v11
	v_add_nc_u32_e32 v42, 0x1640, v11
	ds_load_2addr_b64 v[1:4], v1 offset1:1
	ds_load_2addr_b64 v[5:8], v11 offset1:1
	ds_load_2addr_b64 v[12:15], v11 offset0:2 offset1:3
	ds_load_2addr_b64 v[16:19], v9 offset1:1
	v_add_nc_u32_e32 v9, 0x1620, v11
	ds_load_2addr_b64 v[20:23], v11 offset0:4 offset1:5
	ds_load_2addr_b64 v[24:27], v11 offset0:6 offset1:7
	ds_load_2addr_b64 v[28:31], v9 offset1:1
	ds_load_2addr_b64 v[32:35], v10 offset1:1
	ds_load_2addr_b64 v[36:39], v11 offset0:8 offset1:9
	s_waitcnt lgkmcnt(7)
	v_add_co_u32 v9, vcc_lo, v5, v1
	v_add_co_ci_u32_e32 v10, vcc_lo, v6, v2, vcc_lo
	v_add_co_u32 v40, vcc_lo, v7, v3
	v_add_co_ci_u32_e32 v41, vcc_lo, v8, v4, vcc_lo
	ds_load_2addr_b64 v[1:4], v42 offset1:1
	v_add_nc_u32_e32 v5, 0x50, v11
	s_waitcnt lgkmcnt(6)
	v_add_co_u32 v12, vcc_lo, v12, v16
	v_add_co_ci_u32_e32 v13, vcc_lo, v13, v17, vcc_lo
	v_add_co_u32 v14, vcc_lo, v14, v18
	ds_load_2addr_stride64_b64 v[5:8], v5 offset1:11
	v_add_co_ci_u32_e32 v15, vcc_lo, v15, v19, vcc_lo
	s_waitcnt lgkmcnt(4)
	v_add_co_u32 v16, vcc_lo, v20, v28
	v_add_co_ci_u32_e32 v17, vcc_lo, v21, v29, vcc_lo
	v_add_co_u32 v18, vcc_lo, v22, v30
	v_add_co_ci_u32_e32 v19, vcc_lo, v23, v31, vcc_lo
	s_waitcnt lgkmcnt(3)
	v_add_co_u32 v20, vcc_lo, v24, v32
	v_add_co_ci_u32_e32 v21, vcc_lo, v25, v33, vcc_lo
	v_add_co_u32 v22, vcc_lo, v26, v34
	;; [unrolled: 5-line block ×3, first 2 shown]
	v_add_co_ci_u32_e32 v4, vcc_lo, v39, v4, vcc_lo
	s_waitcnt lgkmcnt(0)
	v_add_co_u32 v5, vcc_lo, v5, v7
	v_add_co_ci_u32_e32 v6, vcc_lo, v6, v8, vcc_lo
	ds_store_2addr_b64 v11, v[9:10], v[40:41] offset1:1
	ds_store_2addr_b64 v11, v[12:13], v[14:15] offset0:2 offset1:3
	ds_store_2addr_b64 v11, v[16:17], v[18:19] offset0:4 offset1:5
	;; [unrolled: 1-line block ×4, first 2 shown]
	ds_store_b64 v11, v[5:6] offset:80
.LBB44_25:
	s_or_b32 exec_lo, exec_lo, s0
	s_delay_alu instid0(SALU_CYCLE_1)
	s_mov_b32 s0, exec_lo
	s_waitcnt lgkmcnt(0)
	s_barrier
	buffer_gl0_inv
	v_cmpx_gt_u32_e32 32, v0
	s_cbranch_execz .LBB44_27
; %bb.26:
	v_add_nc_u32_e32 v1, 0xb00, v11
	v_add_nc_u32_e32 v9, 0xb10, v11
	;; [unrolled: 1-line block ×4, first 2 shown]
	ds_load_2addr_b64 v[1:4], v1 offset1:1
	ds_load_2addr_b64 v[5:8], v11 offset1:1
	ds_load_2addr_b64 v[12:15], v11 offset0:2 offset1:3
	ds_load_2addr_b64 v[16:19], v9 offset1:1
	v_add_nc_u32_e32 v9, 0xb20, v11
	ds_load_2addr_b64 v[20:23], v11 offset0:4 offset1:5
	ds_load_2addr_b64 v[24:27], v11 offset0:6 offset1:7
	ds_load_2addr_b64 v[28:31], v9 offset1:1
	ds_load_2addr_b64 v[32:35], v10 offset1:1
	ds_load_b64 v[9:10], v11 offset:2896
	s_waitcnt lgkmcnt(7)
	v_add_co_u32 v36, vcc_lo, v5, v1
	v_add_co_ci_u32_e32 v37, vcc_lo, v6, v2, vcc_lo
	v_add_co_u32 v38, vcc_lo, v7, v3
	v_add_co_ci_u32_e32 v39, vcc_lo, v8, v4, vcc_lo
	ds_load_2addr_b64 v[1:4], v40 offset1:1
	ds_load_2addr_b64 v[5:8], v11 offset0:8 offset1:9
	s_waitcnt lgkmcnt(7)
	v_add_co_u32 v12, vcc_lo, v12, v16
	v_add_co_ci_u32_e32 v13, vcc_lo, v13, v17, vcc_lo
	v_add_co_u32 v14, vcc_lo, v14, v18
	v_add_co_ci_u32_e32 v15, vcc_lo, v15, v19, vcc_lo
	ds_load_b64 v[18:19], v11 offset:80
	s_waitcnt lgkmcnt(5)
	v_add_co_u32 v16, vcc_lo, v20, v28
	v_add_co_ci_u32_e32 v17, vcc_lo, v21, v29, vcc_lo
	v_add_co_u32 v20, vcc_lo, v22, v30
	v_add_co_ci_u32_e32 v21, vcc_lo, v23, v31, vcc_lo
	s_waitcnt lgkmcnt(4)
	v_add_co_u32 v22, vcc_lo, v24, v32
	v_add_co_ci_u32_e32 v23, vcc_lo, v25, v33, vcc_lo
	v_add_co_u32 v24, vcc_lo, v26, v34
	v_add_co_ci_u32_e32 v25, vcc_lo, v27, v35, vcc_lo
	;; [unrolled: 5-line block ×3, first 2 shown]
	s_waitcnt lgkmcnt(0)
	v_add_co_u32 v5, vcc_lo, v18, v9
	v_add_co_ci_u32_e32 v6, vcc_lo, v19, v10, vcc_lo
	ds_store_2addr_b64 v11, v[36:37], v[38:39] offset1:1
	ds_store_2addr_b64 v11, v[12:13], v[14:15] offset0:2 offset1:3
	ds_store_2addr_b64 v11, v[16:17], v[20:21] offset0:4 offset1:5
	;; [unrolled: 1-line block ×4, first 2 shown]
	ds_store_b64 v11, v[5:6] offset:80
.LBB44_27:
	s_or_b32 exec_lo, exec_lo, s0
	s_delay_alu instid0(SALU_CYCLE_1)
	s_mov_b32 s0, exec_lo
	s_waitcnt lgkmcnt(0)
	s_barrier
	buffer_gl0_inv
	v_cmpx_gt_u32_e32 16, v0
	s_cbranch_execz .LBB44_29
; %bb.28:
	ds_load_2addr_b64 v[1:4], v11 offset0:176 offset1:177
	ds_load_2addr_b64 v[5:8], v11 offset1:1
	ds_load_2addr_b64 v[12:15], v11 offset0:2 offset1:3
	ds_load_2addr_b64 v[16:19], v11 offset0:178 offset1:179
	ds_load_2addr_b64 v[20:23], v11 offset0:180 offset1:181
	ds_load_2addr_b64 v[24:27], v11 offset0:182 offset1:183
	ds_load_2addr_b64 v[28:31], v11 offset0:4 offset1:5
	ds_load_2addr_b64 v[32:35], v11 offset0:6 offset1:7
	ds_load_2addr_b64 v[36:39], v11 offset0:8 offset1:9
	s_waitcnt lgkmcnt(7)
	v_add_co_u32 v9, vcc_lo, v5, v1
	v_add_co_ci_u32_e32 v10, vcc_lo, v6, v2, vcc_lo
	v_add_co_u32 v40, vcc_lo, v7, v3
	v_add_co_ci_u32_e32 v41, vcc_lo, v8, v4, vcc_lo
	ds_load_2addr_b64 v[1:4], v11 offset0:184 offset1:185
	s_waitcnt lgkmcnt(6)
	v_add_co_u32 v12, vcc_lo, v12, v16
	v_add_co_ci_u32_e32 v13, vcc_lo, v13, v17, vcc_lo
	v_add_co_u32 v14, vcc_lo, v14, v18
	ds_load_2addr_b64 v[5:8], v11 offset0:10 offset1:186
	v_add_co_ci_u32_e32 v15, vcc_lo, v15, v19, vcc_lo
	s_waitcnt lgkmcnt(4)
	v_add_co_u32 v16, vcc_lo, v28, v20
	v_add_co_ci_u32_e32 v17, vcc_lo, v29, v21, vcc_lo
	v_add_co_u32 v18, vcc_lo, v30, v22
	v_add_co_ci_u32_e32 v19, vcc_lo, v31, v23, vcc_lo
	s_waitcnt lgkmcnt(3)
	v_add_co_u32 v20, vcc_lo, v32, v24
	v_add_co_ci_u32_e32 v21, vcc_lo, v33, v25, vcc_lo
	v_add_co_u32 v22, vcc_lo, v34, v26
	v_add_co_ci_u32_e32 v23, vcc_lo, v35, v27, vcc_lo
	s_waitcnt lgkmcnt(1)
	v_add_co_u32 v1, vcc_lo, v36, v1
	v_add_co_ci_u32_e32 v2, vcc_lo, v37, v2, vcc_lo
	v_add_co_u32 v3, vcc_lo, v38, v3
	v_add_co_ci_u32_e32 v4, vcc_lo, v39, v4, vcc_lo
	s_waitcnt lgkmcnt(0)
	v_add_co_u32 v5, vcc_lo, v5, v7
	v_add_co_ci_u32_e32 v6, vcc_lo, v6, v8, vcc_lo
	ds_store_2addr_b64 v11, v[9:10], v[40:41] offset1:1
	ds_store_2addr_b64 v11, v[12:13], v[14:15] offset0:2 offset1:3
	ds_store_2addr_b64 v11, v[16:17], v[18:19] offset0:4 offset1:5
	ds_store_2addr_b64 v11, v[20:21], v[22:23] offset0:6 offset1:7
	ds_store_2addr_b64 v11, v[1:2], v[3:4] offset0:8 offset1:9
	ds_store_b64 v11, v[5:6] offset:80
.LBB44_29:
	s_or_b32 exec_lo, exec_lo, s0
	s_delay_alu instid0(SALU_CYCLE_1)
	s_mov_b32 s0, exec_lo
	s_waitcnt lgkmcnt(0)
	s_barrier
	buffer_gl0_inv
	v_cmpx_gt_u32_e32 8, v0
	s_cbranch_execz .LBB44_31
; %bb.30:
	ds_load_2addr_b64 v[1:4], v11 offset0:88 offset1:89
	ds_load_2addr_b64 v[5:8], v11 offset1:1
	ds_load_2addr_b64 v[12:15], v11 offset0:2 offset1:3
	ds_load_2addr_b64 v[16:19], v11 offset0:90 offset1:91
	ds_load_2addr_b64 v[20:23], v11 offset0:92 offset1:93
	ds_load_2addr_b64 v[24:27], v11 offset0:94 offset1:95
	ds_load_2addr_b64 v[28:31], v11 offset0:4 offset1:5
	ds_load_2addr_b64 v[32:35], v11 offset0:6 offset1:7
	ds_load_2addr_b64 v[36:39], v11 offset0:8 offset1:9
	s_waitcnt lgkmcnt(7)
	v_add_co_u32 v9, vcc_lo, v5, v1
	v_add_co_ci_u32_e32 v10, vcc_lo, v6, v2, vcc_lo
	v_add_co_u32 v40, vcc_lo, v7, v3
	v_add_co_ci_u32_e32 v41, vcc_lo, v8, v4, vcc_lo
	ds_load_2addr_b64 v[1:4], v11 offset0:96 offset1:97
	s_waitcnt lgkmcnt(6)
	v_add_co_u32 v12, vcc_lo, v12, v16
	v_add_co_ci_u32_e32 v13, vcc_lo, v13, v17, vcc_lo
	v_add_co_u32 v14, vcc_lo, v14, v18
	ds_load_2addr_b64 v[5:8], v11 offset0:10 offset1:98
	v_add_co_ci_u32_e32 v15, vcc_lo, v15, v19, vcc_lo
	s_waitcnt lgkmcnt(4)
	v_add_co_u32 v16, vcc_lo, v28, v20
	v_add_co_ci_u32_e32 v17, vcc_lo, v29, v21, vcc_lo
	v_add_co_u32 v18, vcc_lo, v30, v22
	v_add_co_ci_u32_e32 v19, vcc_lo, v31, v23, vcc_lo
	s_waitcnt lgkmcnt(3)
	v_add_co_u32 v20, vcc_lo, v32, v24
	v_add_co_ci_u32_e32 v21, vcc_lo, v33, v25, vcc_lo
	v_add_co_u32 v22, vcc_lo, v34, v26
	v_add_co_ci_u32_e32 v23, vcc_lo, v35, v27, vcc_lo
	s_waitcnt lgkmcnt(1)
	v_add_co_u32 v1, vcc_lo, v36, v1
	v_add_co_ci_u32_e32 v2, vcc_lo, v37, v2, vcc_lo
	v_add_co_u32 v3, vcc_lo, v38, v3
	v_add_co_ci_u32_e32 v4, vcc_lo, v39, v4, vcc_lo
	s_waitcnt lgkmcnt(0)
	v_add_co_u32 v5, vcc_lo, v5, v7
	v_add_co_ci_u32_e32 v6, vcc_lo, v6, v8, vcc_lo
	ds_store_2addr_b64 v11, v[9:10], v[40:41] offset1:1
	ds_store_2addr_b64 v11, v[12:13], v[14:15] offset0:2 offset1:3
	ds_store_2addr_b64 v11, v[16:17], v[18:19] offset0:4 offset1:5
	ds_store_2addr_b64 v11, v[20:21], v[22:23] offset0:6 offset1:7
	ds_store_2addr_b64 v11, v[1:2], v[3:4] offset0:8 offset1:9
	ds_store_b64 v11, v[5:6] offset:80
.LBB44_31:
	;; [unrolled: 55-line block ×4, first 2 shown]
	s_or_b32 exec_lo, exec_lo, s0
	s_delay_alu instid0(SALU_CYCLE_1)
	s_mov_b32 s0, exec_lo
	s_waitcnt lgkmcnt(0)
	s_barrier
	buffer_gl0_inv
	v_cmpx_eq_u32_e32 0, v0
	s_cbranch_execz .LBB44_37
; %bb.36:
	v_mov_b32_e32 v41, 0
	ds_load_b128 v[1:4], v41 offset:80
	ds_load_b128 v[5:8], v41
	ds_load_b128 v[9:12], v41 offset:96
	ds_load_b128 v[13:16], v41 offset:16
	;; [unrolled: 1-line block ×8, first 2 shown]
	s_waitcnt lgkmcnt(8)
	v_add_co_u32 v3, vcc_lo, v5, v3
	v_add_co_ci_u32_e32 v4, vcc_lo, v6, v4, vcc_lo
	s_waitcnt lgkmcnt(7)
	v_add_co_u32 v5, vcc_lo, v7, v9
	v_add_co_ci_u32_e32 v6, vcc_lo, v8, v10, vcc_lo
	;; [unrolled: 3-line block ×3, first 2 shown]
	ds_load_b128 v[11:14], v41 offset:160
	s_waitcnt lgkmcnt(6)
	v_add_co_u32 v9, vcc_lo, v15, v17
	v_add_co_ci_u32_e32 v10, vcc_lo, v16, v18, vcc_lo
	s_waitcnt lgkmcnt(5)
	v_add_co_u32 v15, vcc_lo, v21, v19
	v_add_co_ci_u32_e32 v16, vcc_lo, v22, v20, vcc_lo
	;; [unrolled: 3-line block ×3, first 2 shown]
	v_add_co_u32 v19, vcc_lo, v25, v31
	v_add_co_ci_u32_e32 v20, vcc_lo, v26, v32, vcc_lo
	s_waitcnt lgkmcnt(2)
	v_add_co_u32 v21, vcc_lo, v27, v33
	v_add_co_ci_u32_e32 v22, vcc_lo, v28, v34, vcc_lo
	s_waitcnt lgkmcnt(1)
	;; [unrolled: 3-line block ×3, first 2 shown]
	v_add_co_u32 v25, vcc_lo, v39, v11
	v_add_co_ci_u32_e32 v26, vcc_lo, v40, v12, vcc_lo
	v_add_co_u32 v1, vcc_lo, v1, v13
	v_add_co_ci_u32_e32 v2, vcc_lo, v2, v14, vcc_lo
	ds_store_b128 v41, v[3:6]
	ds_store_b128 v41, v[7:10] offset:16
	ds_store_b128 v41, v[15:18] offset:32
	;; [unrolled: 1-line block ×4, first 2 shown]
	ds_store_b64 v41, v[1:2] offset:80
.LBB44_37:
	s_or_b32 exec_lo, exec_lo, s0
	s_waitcnt lgkmcnt(0)
	s_barrier
	buffer_gl0_inv
	s_mov_b32 s0, exec_lo
	v_cmpx_gt_u32_e32 11, v0
	s_cbranch_execz .LBB44_39
; %bb.38:
	v_lshlrev_b32_e32 v3, 3, v0
	v_mad_u64_u32 v[1:2], null, s15, 11, v[0:1]
	v_mov_b32_e32 v2, 0
	ds_load_b64 v[3:4], v3
	v_lshlrev_b64 v[0:1], 3, v[1:2]
	s_delay_alu instid0(VALU_DEP_1) | instskip(NEXT) | instid1(VALU_DEP_2)
	v_add_co_u32 v0, vcc_lo, s2, v0
	v_add_co_ci_u32_e32 v1, vcc_lo, s3, v1, vcc_lo
	s_waitcnt lgkmcnt(0)
	global_store_b64 v[0:1], v[3:4], off
.LBB44_39:
	s_nop 0
	s_sendmsg sendmsg(MSG_DEALLOC_VGPRS)
	s_endpgm
	.section	.rodata,"a",@progbits
	.p2align	6, 0x0
	.amdhsa_kernel _ZN9rocsparseL26csrgemm_group_reduce_part1ILj256ELj11EllEEvT2_PT1_PS1_j
		.amdhsa_group_segment_fixed_size 22528
		.amdhsa_private_segment_fixed_size 0
		.amdhsa_kernarg_size 288
		.amdhsa_user_sgpr_count 15
		.amdhsa_user_sgpr_dispatch_ptr 0
		.amdhsa_user_sgpr_queue_ptr 0
		.amdhsa_user_sgpr_kernarg_segment_ptr 1
		.amdhsa_user_sgpr_dispatch_id 0
		.amdhsa_user_sgpr_private_segment_size 0
		.amdhsa_wavefront_size32 1
		.amdhsa_uses_dynamic_stack 0
		.amdhsa_enable_private_segment 0
		.amdhsa_system_sgpr_workgroup_id_x 1
		.amdhsa_system_sgpr_workgroup_id_y 0
		.amdhsa_system_sgpr_workgroup_id_z 0
		.amdhsa_system_sgpr_workgroup_info 0
		.amdhsa_system_vgpr_workitem_id 0
		.amdhsa_next_free_vgpr 43
		.amdhsa_next_free_sgpr 23
		.amdhsa_reserve_vcc 1
		.amdhsa_float_round_mode_32 0
		.amdhsa_float_round_mode_16_64 0
		.amdhsa_float_denorm_mode_32 3
		.amdhsa_float_denorm_mode_16_64 3
		.amdhsa_dx10_clamp 1
		.amdhsa_ieee_mode 1
		.amdhsa_fp16_overflow 0
		.amdhsa_workgroup_processor_mode 1
		.amdhsa_memory_ordered 1
		.amdhsa_forward_progress 0
		.amdhsa_shared_vgpr_count 0
		.amdhsa_exception_fp_ieee_invalid_op 0
		.amdhsa_exception_fp_denorm_src 0
		.amdhsa_exception_fp_ieee_div_zero 0
		.amdhsa_exception_fp_ieee_overflow 0
		.amdhsa_exception_fp_ieee_underflow 0
		.amdhsa_exception_fp_ieee_inexact 0
		.amdhsa_exception_int_div_zero 0
	.end_amdhsa_kernel
	.section	.text._ZN9rocsparseL26csrgemm_group_reduce_part1ILj256ELj11EllEEvT2_PT1_PS1_j,"axG",@progbits,_ZN9rocsparseL26csrgemm_group_reduce_part1ILj256ELj11EllEEvT2_PT1_PS1_j,comdat
.Lfunc_end44:
	.size	_ZN9rocsparseL26csrgemm_group_reduce_part1ILj256ELj11EllEEvT2_PT1_PS1_j, .Lfunc_end44-_ZN9rocsparseL26csrgemm_group_reduce_part1ILj256ELj11EllEEvT2_PT1_PS1_j
                                        ; -- End function
	.section	.AMDGPU.csdata,"",@progbits
; Kernel info:
; codeLenInByte = 3708
; NumSgprs: 25
; NumVgprs: 43
; ScratchSize: 0
; MemoryBound: 0
; FloatMode: 240
; IeeeMode: 1
; LDSByteSize: 22528 bytes/workgroup (compile time only)
; SGPRBlocks: 3
; VGPRBlocks: 5
; NumSGPRsForWavesPerEU: 25
; NumVGPRsForWavesPerEU: 43
; Occupancy: 10
; WaveLimiterHint : 0
; COMPUTE_PGM_RSRC2:SCRATCH_EN: 0
; COMPUTE_PGM_RSRC2:USER_SGPR: 15
; COMPUTE_PGM_RSRC2:TRAP_HANDLER: 0
; COMPUTE_PGM_RSRC2:TGID_X_EN: 1
; COMPUTE_PGM_RSRC2:TGID_Y_EN: 0
; COMPUTE_PGM_RSRC2:TGID_Z_EN: 0
; COMPUTE_PGM_RSRC2:TIDIG_COMP_CNT: 0
	.section	.text._ZN9rocsparseL22csrgemm_nnz_wf_per_rowILj128ELj4ELj32ELj79EllEEvT4_PKS1_S3_PKT3_S3_S6_S3_S6_S3_PS4_21rocsparse_index_base_S8_S8_bb,"axG",@progbits,_ZN9rocsparseL22csrgemm_nnz_wf_per_rowILj128ELj4ELj32ELj79EllEEvT4_PKS1_S3_PKT3_S3_S6_S3_S6_S3_PS4_21rocsparse_index_base_S8_S8_bb,comdat
	.globl	_ZN9rocsparseL22csrgemm_nnz_wf_per_rowILj128ELj4ELj32ELj79EllEEvT4_PKS1_S3_PKT3_S3_S6_S3_S6_S3_PS4_21rocsparse_index_base_S8_S8_bb ; -- Begin function _ZN9rocsparseL22csrgemm_nnz_wf_per_rowILj128ELj4ELj32ELj79EllEEvT4_PKS1_S3_PKT3_S3_S6_S3_S6_S3_PS4_21rocsparse_index_base_S8_S8_bb
	.p2align	8
	.type	_ZN9rocsparseL22csrgemm_nnz_wf_per_rowILj128ELj4ELj32ELj79EllEEvT4_PKS1_S3_PKT3_S3_S6_S3_S6_S3_PS4_21rocsparse_index_base_S8_S8_bb,@function
_ZN9rocsparseL22csrgemm_nnz_wf_per_rowILj128ELj4ELj32ELj79EllEEvT4_PKS1_S3_PKT3_S3_S6_S3_S6_S3_PS4_21rocsparse_index_base_S8_S8_bb: ; @_ZN9rocsparseL22csrgemm_nnz_wf_per_rowILj128ELj4ELj32ELj79EllEEvT4_PKS1_S3_PKT3_S3_S6_S3_S6_S3_PS4_21rocsparse_index_base_S8_S8_bb
; %bb.0:
	s_clause 0x2
	s_load_b64 s[24:25], s[0:1], 0x48
	s_load_b256 s[16:23], s[0:1], 0x8
	s_load_b256 s[4:11], s[0:1], 0x28
	v_and_b32_e32 v16, 3, v0
	v_lshrrev_b32_e32 v2, 2, v0
	s_mov_b32 s2, 0
	s_delay_alu instid0(VALU_DEP_2) | instskip(NEXT) | instid1(VALU_DEP_1)
	v_dual_mov_b32 v0, -1 :: v_dual_lshlrev_b32 v1, 3, v16
	v_lshl_or_b32 v4, v2, 8, v1
	s_delay_alu instid0(VALU_DEP_2)
	v_mov_b32_e32 v1, v0
	v_or_b32_e32 v3, -4, v16
.LBB45_1:                               ; =>This Inner Loop Header: Depth=1
	s_delay_alu instid0(VALU_DEP_1) | instskip(SKIP_4) | instid1(SALU_CYCLE_1)
	v_add_nc_u32_e32 v3, 4, v3
	ds_store_b64 v4, v[0:1]
	v_add_nc_u32_e32 v4, 32, v4
	v_cmp_lt_u32_e32 vcc_lo, 27, v3
	s_or_b32 s2, vcc_lo, s2
	s_and_not1_b32 exec_lo, exec_lo, s2
	s_cbranch_execnz .LBB45_1
; %bb.2:
	s_or_b32 exec_lo, exec_lo, s2
	s_load_b64 s[2:3], s[0:1], 0x0
	s_lshl_b32 s12, s15, 5
	v_mov_b32_e32 v1, 0
	v_and_or_b32 v0, 0x3fffffe0, s12, v2
	s_waitcnt lgkmcnt(0)
	buffer_gl0_inv
	v_cmp_gt_i64_e32 vcc_lo, s[2:3], v[0:1]
	s_and_saveexec_b32 s2, vcc_lo
	s_cbranch_execz .LBB45_38
; %bb.3:
	s_cmp_eq_u64 s[18:19], 0
	s_cbranch_scc1 .LBB45_5
; %bb.4:
	s_load_b64 s[2:3], s[16:17], 0x0
	v_lshlrev_b64 v[0:1], 3, v[0:1]
	s_waitcnt lgkmcnt(0)
	s_lshl_b64 s[2:3], s[2:3], 3
	s_delay_alu instid0(SALU_CYCLE_1) | instskip(SKIP_1) | instid1(VALU_DEP_1)
	s_add_u32 s2, s18, s2
	s_addc_u32 s3, s19, s3
	v_add_co_u32 v0, vcc_lo, s2, v0
	v_add_co_ci_u32_e32 v1, vcc_lo, s3, v1, vcc_lo
	global_load_b64 v[0:1], v[0:1], off
.LBB45_5:
	s_load_b128 s[12:15], s[0:1], 0x50
	v_dual_mov_b32 v6, 0 :: v_dual_lshlrev_b32 v17, 8, v2
	s_waitcnt vmcnt(0)
	v_lshlrev_b64 v[4:5], 3, v[0:1]
	v_mov_b32_e32 v7, 0
	s_waitcnt lgkmcnt(0)
	s_bitcmp0_b32 s15, 0
	s_cbranch_scc1 .LBB45_23
; %bb.6:
	s_delay_alu instid0(VALU_DEP_2) | instskip(SKIP_2) | instid1(VALU_DEP_1)
	v_add_co_u32 v0, vcc_lo, s20, v4
	v_add_co_ci_u32_e32 v1, vcc_lo, s21, v5, vcc_lo
	v_sub_co_u32 v6, s2, v16, s12
	v_sub_co_ci_u32_e64 v7, null, 0, 0, s2
	global_load_b128 v[0:3], v[0:1], off
	s_mov_b32 s3, exec_lo
	s_waitcnt vmcnt(0)
	v_sub_co_u32 v8, vcc_lo, v2, s12
	v_subrev_co_ci_u32_e32 v9, vcc_lo, 0, v3, vcc_lo
	v_add_co_u32 v10, vcc_lo, v6, v0
	v_add_co_ci_u32_e32 v11, vcc_lo, v7, v1, vcc_lo
	v_mov_b32_e32 v6, 0
	v_mov_b32_e32 v7, 0
	s_delay_alu instid0(VALU_DEP_3)
	v_cmpx_lt_i64_e64 v[10:11], v[8:9]
	s_cbranch_execz .LBB45_22
; %bb.7:
	v_mov_b32_e32 v6, 0
	v_mov_b32_e32 v7, 0
	s_mov_b32 s15, 0
	s_branch .LBB45_10
.LBB45_8:                               ;   in Loop: Header=BB45_10 Depth=1
	s_or_b32 exec_lo, exec_lo, s17
.LBB45_9:                               ;   in Loop: Header=BB45_10 Depth=1
	s_delay_alu instid0(SALU_CYCLE_1) | instskip(SKIP_2) | instid1(VALU_DEP_1)
	s_or_b32 exec_lo, exec_lo, s16
	v_add_co_u32 v10, vcc_lo, v10, 4
	v_add_co_ci_u32_e32 v11, vcc_lo, 0, v11, vcc_lo
	v_cmp_ge_i64_e32 vcc_lo, v[10:11], v[8:9]
	s_or_b32 s15, vcc_lo, s15
	s_delay_alu instid0(SALU_CYCLE_1)
	s_and_not1_b32 exec_lo, exec_lo, s15
	s_cbranch_execz .LBB45_21
.LBB45_10:                              ; =>This Loop Header: Depth=1
                                        ;     Child Loop BB45_13 Depth 2
                                        ;       Child Loop BB45_16 Depth 3
	v_lshlrev_b64 v[0:1], 3, v[10:11]
	s_mov_b32 s16, exec_lo
	s_delay_alu instid0(VALU_DEP_1) | instskip(NEXT) | instid1(VALU_DEP_2)
	v_add_co_u32 v0, vcc_lo, s22, v0
	v_add_co_ci_u32_e32 v1, vcc_lo, s23, v1, vcc_lo
	global_load_b64 v[0:1], v[0:1], off
	s_waitcnt vmcnt(0)
	v_sub_co_u32 v0, vcc_lo, v0, s12
	v_subrev_co_ci_u32_e32 v1, vcc_lo, 0, v1, vcc_lo
	s_delay_alu instid0(VALU_DEP_1) | instskip(NEXT) | instid1(VALU_DEP_1)
	v_lshlrev_b64 v[0:1], 3, v[0:1]
	v_add_co_u32 v0, vcc_lo, s4, v0
	s_delay_alu instid0(VALU_DEP_2)
	v_add_co_ci_u32_e32 v1, vcc_lo, s5, v1, vcc_lo
	global_load_b128 v[0:3], v[0:1], off
	s_waitcnt vmcnt(0)
	v_cmpx_lt_i64_e64 v[0:1], v[2:3]
	s_cbranch_execz .LBB45_9
; %bb.11:                               ;   in Loop: Header=BB45_10 Depth=1
	v_sub_co_u32 v2, vcc_lo, v2, s13
	v_subrev_co_ci_u32_e32 v3, vcc_lo, 0, v3, vcc_lo
	v_sub_co_u32 v0, vcc_lo, v0, s13
	v_subrev_co_ci_u32_e32 v1, vcc_lo, 0, v1, vcc_lo
	s_mov_b32 s17, 0
	s_branch .LBB45_13
.LBB45_12:                              ;   in Loop: Header=BB45_13 Depth=2
	s_or_b32 exec_lo, exec_lo, s19
	v_add_co_u32 v0, vcc_lo, v0, 1
	v_add_co_ci_u32_e32 v1, vcc_lo, 0, v1, vcc_lo
	v_cndmask_b32_e64 v12, 0, 1, s18
	s_delay_alu instid0(VALU_DEP_2) | instskip(NEXT) | instid1(VALU_DEP_2)
	v_cmp_ge_i64_e32 vcc_lo, v[0:1], v[2:3]
	v_add_co_u32 v6, s2, v6, v12
	s_delay_alu instid0(VALU_DEP_1) | instskip(SKIP_1) | instid1(SALU_CYCLE_1)
	v_add_co_ci_u32_e64 v7, s2, 0, v7, s2
	s_or_b32 s17, vcc_lo, s17
	s_and_not1_b32 exec_lo, exec_lo, s17
	s_cbranch_execz .LBB45_8
.LBB45_13:                              ;   Parent Loop BB45_10 Depth=1
                                        ; =>  This Loop Header: Depth=2
                                        ;       Child Loop BB45_16 Depth 3
	s_delay_alu instid0(VALU_DEP_1) | instskip(SKIP_1) | instid1(VALU_DEP_1)
	v_lshlrev_b64 v[12:13], 3, v[0:1]
	s_mov_b32 s19, 0
                                        ; implicit-def: $sgpr18
                                        ; implicit-def: $sgpr20
                                        ; implicit-def: $sgpr21
                                        ; implicit-def: $sgpr26
	v_add_co_u32 v12, vcc_lo, s6, v12
	s_delay_alu instid0(VALU_DEP_2) | instskip(SKIP_4) | instid1(VALU_DEP_2)
	v_add_co_ci_u32_e32 v13, vcc_lo, s7, v13, vcc_lo
	global_load_b64 v[12:13], v[12:13], off
	s_waitcnt vmcnt(0)
	v_sub_co_u32 v12, vcc_lo, v12, s13
	v_subrev_co_ci_u32_e32 v13, vcc_lo, 0, v13, vcc_lo
	v_mul_lo_u32 v14, v12, 15
	s_delay_alu instid0(VALU_DEP_1)
	v_and_b32_e32 v18, 31, v14
	s_branch .LBB45_16
.LBB45_14:                              ;   in Loop: Header=BB45_16 Depth=3
	s_or_b32 exec_lo, exec_lo, s30
	s_delay_alu instid0(SALU_CYCLE_1)
	s_and_not1_b32 s2, s21, exec_lo
	s_and_b32 s21, s29, exec_lo
	s_and_not1_b32 s20, s20, exec_lo
	s_and_b32 s26, s28, exec_lo
	s_or_b32 s21, s2, s21
	s_or_b32 s20, s20, s26
                                        ; implicit-def: $sgpr26
.LBB45_15:                              ;   in Loop: Header=BB45_16 Depth=3
	s_or_b32 exec_lo, exec_lo, s27
	s_xor_b32 s2, s20, -1
	s_delay_alu instid0(SALU_CYCLE_1) | instskip(NEXT) | instid1(SALU_CYCLE_1)
	s_and_b32 s2, exec_lo, s2
	s_or_b32 s19, s2, s19
	s_and_not1_b32 s2, s26, exec_lo
	s_and_b32 s27, s21, exec_lo
	s_and_not1_b32 s18, s18, exec_lo
	s_or_b32 s26, s2, s27
	s_or_b32 s18, s18, s27
	s_and_not1_b32 exec_lo, exec_lo, s19
	s_cbranch_execz .LBB45_12
.LBB45_16:                              ;   Parent Loop BB45_10 Depth=1
                                        ;     Parent Loop BB45_13 Depth=2
                                        ; =>    This Inner Loop Header: Depth=3
	s_delay_alu instid0(VALU_DEP_1)
	v_lshl_add_u32 v19, v18, 3, v17
	s_and_not1_b32 s21, s21, exec_lo
	s_and_not1_b32 s20, s20, exec_lo
	s_mov_b32 s27, exec_lo
	ds_load_b64 v[14:15], v19
	s_waitcnt lgkmcnt(0)
	v_cmpx_ne_u64_e64 v[14:15], v[12:13]
	s_cbranch_execz .LBB45_15
; %bb.17:                               ;   in Loop: Header=BB45_16 Depth=3
	s_mov_b32 s2, exec_lo
                                        ; implicit-def: $sgpr29
                                        ; implicit-def: $sgpr28
	v_cmpx_ne_u64_e32 -1, v[14:15]
	s_xor_b32 s2, exec_lo, s2
; %bb.18:                               ;   in Loop: Header=BB45_16 Depth=3
	v_add_nc_u32_e32 v14, 1, v18
	s_mov_b32 s28, -1
	s_and_b32 s29, s26, exec_lo
                                        ; implicit-def: $vgpr19
	s_delay_alu instid0(VALU_DEP_1)
	v_and_b32_e32 v18, 31, v14
; %bb.19:                               ;   in Loop: Header=BB45_16 Depth=3
	s_and_not1_saveexec_b32 s30, s2
	s_cbranch_execz .LBB45_14
; %bb.20:                               ;   in Loop: Header=BB45_16 Depth=3
	v_mov_b32_e32 v14, -1
	v_mov_b32_e32 v15, -1
	s_and_not1_b32 s28, s28, exec_lo
	s_and_not1_b32 s29, s29, exec_lo
	ds_cmpstore_rtn_b64 v[14:15], v19, v[12:13], v[14:15]
	s_waitcnt lgkmcnt(0)
	v_cmp_eq_u64_e32 vcc_lo, -1, v[14:15]
	v_cmp_ne_u64_e64 s2, -1, v[14:15]
	s_or_b32 s26, vcc_lo, s26
	s_delay_alu instid0(VALU_DEP_1)
	s_and_b32 s2, s2, exec_lo
	s_and_b32 s26, s26, exec_lo
	s_or_b32 s28, s28, s2
	s_or_b32 s29, s29, s26
	s_branch .LBB45_14
.LBB45_21:
	s_or_b32 exec_lo, exec_lo, s15
.LBB45_22:
	s_delay_alu instid0(SALU_CYCLE_1)
	s_or_b32 exec_lo, exec_lo, s3
.LBB45_23:
	s_load_b32 s0, s[0:1], 0x5c
	s_waitcnt lgkmcnt(0)
	s_bfe_u32 s0, s0, 0x10008
	s_delay_alu instid0(SALU_CYCLE_1)
	s_cmp_eq_u32 s0, 0
	s_cbranch_scc1 .LBB45_36
; %bb.24:
	v_add_co_u32 v0, vcc_lo, s8, v4
	v_add_co_ci_u32_e32 v1, vcc_lo, s9, v5, vcc_lo
	v_sub_co_u32 v2, s0, v16, s14
	s_delay_alu instid0(VALU_DEP_1)
	v_sub_co_ci_u32_e64 v3, null, 0, 0, s0
	global_load_b128 v[8:11], v[0:1], off
	s_mov_b32 s2, 0
	s_mov_b32 s1, exec_lo
	s_waitcnt vmcnt(0)
	v_sub_co_u32 v0, vcc_lo, v10, s14
	v_subrev_co_ci_u32_e32 v1, vcc_lo, 0, v11, vcc_lo
	v_add_co_u32 v2, vcc_lo, v2, v8
	v_add_co_ci_u32_e32 v3, vcc_lo, v3, v9, vcc_lo
	s_delay_alu instid0(VALU_DEP_1)
	v_cmpx_lt_i64_e64 v[2:3], v[0:1]
	s_cbranch_execnz .LBB45_26
	s_branch .LBB45_35
.LBB45_25:                              ;   in Loop: Header=BB45_26 Depth=1
	s_or_b32 exec_lo, exec_lo, s4
	v_add_co_u32 v2, vcc_lo, v2, 4
	v_add_co_ci_u32_e32 v3, vcc_lo, 0, v3, vcc_lo
	v_cndmask_b32_e64 v8, 0, 1, s3
	s_delay_alu instid0(VALU_DEP_2) | instskip(NEXT) | instid1(VALU_DEP_2)
	v_cmp_ge_i64_e32 vcc_lo, v[2:3], v[0:1]
	v_add_co_u32 v6, s0, v6, v8
	s_delay_alu instid0(VALU_DEP_1) | instskip(SKIP_1) | instid1(SALU_CYCLE_1)
	v_add_co_ci_u32_e64 v7, s0, 0, v7, s0
	s_or_b32 s2, vcc_lo, s2
	s_and_not1_b32 exec_lo, exec_lo, s2
	s_cbranch_execz .LBB45_34
.LBB45_26:                              ; =>This Loop Header: Depth=1
                                        ;     Child Loop BB45_29 Depth 2
	v_lshlrev_b64 v[8:9], 3, v[2:3]
	s_mov_b32 s4, 0
                                        ; implicit-def: $sgpr3
                                        ; implicit-def: $sgpr5
                                        ; implicit-def: $sgpr6
                                        ; implicit-def: $sgpr7
	s_delay_alu instid0(VALU_DEP_1) | instskip(NEXT) | instid1(VALU_DEP_2)
	v_add_co_u32 v8, vcc_lo, s10, v8
	v_add_co_ci_u32_e32 v9, vcc_lo, s11, v9, vcc_lo
	global_load_b64 v[8:9], v[8:9], off
	s_waitcnt vmcnt(0)
	v_sub_co_u32 v8, vcc_lo, v8, s14
	v_subrev_co_ci_u32_e32 v9, vcc_lo, 0, v9, vcc_lo
	s_delay_alu instid0(VALU_DEP_2) | instskip(NEXT) | instid1(VALU_DEP_1)
	v_mul_lo_u32 v10, v8, 15
	v_and_b32_e32 v12, 31, v10
	s_branch .LBB45_29
.LBB45_27:                              ;   in Loop: Header=BB45_29 Depth=2
	s_or_b32 exec_lo, exec_lo, s13
	s_delay_alu instid0(SALU_CYCLE_1)
	s_and_not1_b32 s0, s6, exec_lo
	s_and_b32 s6, s12, exec_lo
	s_and_not1_b32 s5, s5, exec_lo
	s_and_b32 s7, s9, exec_lo
	s_or_b32 s6, s0, s6
	s_or_b32 s5, s5, s7
                                        ; implicit-def: $sgpr7
.LBB45_28:                              ;   in Loop: Header=BB45_29 Depth=2
	s_or_b32 exec_lo, exec_lo, s8
	s_xor_b32 s0, s5, -1
	s_delay_alu instid0(SALU_CYCLE_1) | instskip(NEXT) | instid1(SALU_CYCLE_1)
	s_and_b32 s0, exec_lo, s0
	s_or_b32 s4, s0, s4
	s_and_not1_b32 s0, s7, exec_lo
	s_and_b32 s8, s6, exec_lo
	s_and_not1_b32 s3, s3, exec_lo
	s_or_b32 s7, s0, s8
	s_or_b32 s3, s3, s8
	s_and_not1_b32 exec_lo, exec_lo, s4
	s_cbranch_execz .LBB45_25
.LBB45_29:                              ;   Parent Loop BB45_26 Depth=1
                                        ; =>  This Inner Loop Header: Depth=2
	s_delay_alu instid0(VALU_DEP_1)
	v_lshl_add_u32 v13, v12, 3, v17
	s_and_not1_b32 s6, s6, exec_lo
	s_and_not1_b32 s5, s5, exec_lo
	s_mov_b32 s8, exec_lo
	ds_load_b64 v[10:11], v13
	s_waitcnt lgkmcnt(0)
	v_cmpx_ne_u64_e64 v[10:11], v[8:9]
	s_cbranch_execz .LBB45_28
; %bb.30:                               ;   in Loop: Header=BB45_29 Depth=2
	s_mov_b32 s0, exec_lo
                                        ; implicit-def: $sgpr12
                                        ; implicit-def: $sgpr9
	v_cmpx_ne_u64_e32 -1, v[10:11]
	s_xor_b32 s0, exec_lo, s0
; %bb.31:                               ;   in Loop: Header=BB45_29 Depth=2
	v_add_nc_u32_e32 v10, 1, v12
	s_mov_b32 s9, -1
	s_and_b32 s12, s7, exec_lo
                                        ; implicit-def: $vgpr13
	s_delay_alu instid0(VALU_DEP_1)
	v_and_b32_e32 v12, 31, v10
; %bb.32:                               ;   in Loop: Header=BB45_29 Depth=2
	s_and_not1_saveexec_b32 s13, s0
	s_cbranch_execz .LBB45_27
; %bb.33:                               ;   in Loop: Header=BB45_29 Depth=2
	v_mov_b32_e32 v10, -1
	v_mov_b32_e32 v11, -1
	s_and_not1_b32 s9, s9, exec_lo
	s_and_not1_b32 s12, s12, exec_lo
	ds_cmpstore_rtn_b64 v[10:11], v13, v[8:9], v[10:11]
	s_waitcnt lgkmcnt(0)
	v_cmp_eq_u64_e32 vcc_lo, -1, v[10:11]
	v_cmp_ne_u64_e64 s0, -1, v[10:11]
	s_or_b32 s7, vcc_lo, s7
	s_delay_alu instid0(VALU_DEP_1)
	s_and_b32 s0, s0, exec_lo
	s_and_b32 s7, s7, exec_lo
	s_or_b32 s9, s9, s0
	s_or_b32 s12, s12, s7
	s_branch .LBB45_27
.LBB45_34:
	s_or_b32 exec_lo, exec_lo, s2
.LBB45_35:
	s_delay_alu instid0(SALU_CYCLE_1)
	s_or_b32 exec_lo, exec_lo, s1
.LBB45_36:
	v_mbcnt_lo_u32_b32 v0, -1, 0
	s_delay_alu instid0(VALU_DEP_1) | instskip(NEXT) | instid1(VALU_DEP_1)
	v_xor_b32_e32 v1, 2, v0
	v_cmp_gt_i32_e32 vcc_lo, 32, v1
	v_cndmask_b32_e32 v1, v0, v1, vcc_lo
	s_delay_alu instid0(VALU_DEP_1) | instskip(SKIP_3) | instid1(VALU_DEP_1)
	v_lshlrev_b32_e32 v1, 2, v1
	ds_bpermute_b32 v2, v1, v6
	ds_bpermute_b32 v3, v1, v7
	v_xor_b32_e32 v1, 1, v0
	v_cmp_gt_i32_e32 vcc_lo, 32, v1
	v_cndmask_b32_e32 v0, v0, v1, vcc_lo
	s_delay_alu instid0(VALU_DEP_1) | instskip(SKIP_3) | instid1(VALU_DEP_2)
	v_lshlrev_b32_e32 v0, 2, v0
	s_waitcnt lgkmcnt(1)
	v_add_co_u32 v6, vcc_lo, v6, v2
	v_add_co_ci_u32_e32 v2, vcc_lo, 0, v7, vcc_lo
	v_add_co_u32 v1, vcc_lo, 0, v6
	s_waitcnt lgkmcnt(0)
	s_delay_alu instid0(VALU_DEP_2)
	v_add_co_ci_u32_e32 v2, vcc_lo, v3, v2, vcc_lo
	ds_bpermute_b32 v3, v0, v6
	v_cmp_eq_u32_e32 vcc_lo, 3, v16
	ds_bpermute_b32 v0, v0, v2
	s_and_b32 exec_lo, exec_lo, vcc_lo
	s_cbranch_execz .LBB45_38
; %bb.37:
	s_waitcnt lgkmcnt(1)
	v_add_co_u32 v3, vcc_lo, v1, v3
	v_add_co_ci_u32_e32 v6, vcc_lo, 0, v2, vcc_lo
	v_add_co_u32 v1, vcc_lo, s24, v4
	v_add_co_ci_u32_e32 v2, vcc_lo, s25, v5, vcc_lo
	s_delay_alu instid0(VALU_DEP_4)
	v_add_co_u32 v3, vcc_lo, v3, 0
	s_waitcnt lgkmcnt(0)
	v_add_co_ci_u32_e32 v4, vcc_lo, v6, v0, vcc_lo
	global_store_b64 v[1:2], v[3:4], off
.LBB45_38:
	s_nop 0
	s_sendmsg sendmsg(MSG_DEALLOC_VGPRS)
	s_endpgm
	.section	.rodata,"a",@progbits
	.p2align	6, 0x0
	.amdhsa_kernel _ZN9rocsparseL22csrgemm_nnz_wf_per_rowILj128ELj4ELj32ELj79EllEEvT4_PKS1_S3_PKT3_S3_S6_S3_S6_S3_PS4_21rocsparse_index_base_S8_S8_bb
		.amdhsa_group_segment_fixed_size 8192
		.amdhsa_private_segment_fixed_size 0
		.amdhsa_kernarg_size 96
		.amdhsa_user_sgpr_count 15
		.amdhsa_user_sgpr_dispatch_ptr 0
		.amdhsa_user_sgpr_queue_ptr 0
		.amdhsa_user_sgpr_kernarg_segment_ptr 1
		.amdhsa_user_sgpr_dispatch_id 0
		.amdhsa_user_sgpr_private_segment_size 0
		.amdhsa_wavefront_size32 1
		.amdhsa_uses_dynamic_stack 0
		.amdhsa_enable_private_segment 0
		.amdhsa_system_sgpr_workgroup_id_x 1
		.amdhsa_system_sgpr_workgroup_id_y 0
		.amdhsa_system_sgpr_workgroup_id_z 0
		.amdhsa_system_sgpr_workgroup_info 0
		.amdhsa_system_vgpr_workitem_id 0
		.amdhsa_next_free_vgpr 20
		.amdhsa_next_free_sgpr 31
		.amdhsa_reserve_vcc 1
		.amdhsa_float_round_mode_32 0
		.amdhsa_float_round_mode_16_64 0
		.amdhsa_float_denorm_mode_32 3
		.amdhsa_float_denorm_mode_16_64 3
		.amdhsa_dx10_clamp 1
		.amdhsa_ieee_mode 1
		.amdhsa_fp16_overflow 0
		.amdhsa_workgroup_processor_mode 1
		.amdhsa_memory_ordered 1
		.amdhsa_forward_progress 0
		.amdhsa_shared_vgpr_count 0
		.amdhsa_exception_fp_ieee_invalid_op 0
		.amdhsa_exception_fp_denorm_src 0
		.amdhsa_exception_fp_ieee_div_zero 0
		.amdhsa_exception_fp_ieee_overflow 0
		.amdhsa_exception_fp_ieee_underflow 0
		.amdhsa_exception_fp_ieee_inexact 0
		.amdhsa_exception_int_div_zero 0
	.end_amdhsa_kernel
	.section	.text._ZN9rocsparseL22csrgemm_nnz_wf_per_rowILj128ELj4ELj32ELj79EllEEvT4_PKS1_S3_PKT3_S3_S6_S3_S6_S3_PS4_21rocsparse_index_base_S8_S8_bb,"axG",@progbits,_ZN9rocsparseL22csrgemm_nnz_wf_per_rowILj128ELj4ELj32ELj79EllEEvT4_PKS1_S3_PKT3_S3_S6_S3_S6_S3_PS4_21rocsparse_index_base_S8_S8_bb,comdat
.Lfunc_end45:
	.size	_ZN9rocsparseL22csrgemm_nnz_wf_per_rowILj128ELj4ELj32ELj79EllEEvT4_PKS1_S3_PKT3_S3_S6_S3_S6_S3_PS4_21rocsparse_index_base_S8_S8_bb, .Lfunc_end45-_ZN9rocsparseL22csrgemm_nnz_wf_per_rowILj128ELj4ELj32ELj79EllEEvT4_PKS1_S3_PKT3_S3_S6_S3_S6_S3_PS4_21rocsparse_index_base_S8_S8_bb
                                        ; -- End function
	.section	.AMDGPU.csdata,"",@progbits
; Kernel info:
; codeLenInByte = 1664
; NumSgprs: 33
; NumVgprs: 20
; ScratchSize: 0
; MemoryBound: 0
; FloatMode: 240
; IeeeMode: 1
; LDSByteSize: 8192 bytes/workgroup (compile time only)
; SGPRBlocks: 4
; VGPRBlocks: 2
; NumSGPRsForWavesPerEU: 33
; NumVGPRsForWavesPerEU: 20
; Occupancy: 16
; WaveLimiterHint : 1
; COMPUTE_PGM_RSRC2:SCRATCH_EN: 0
; COMPUTE_PGM_RSRC2:USER_SGPR: 15
; COMPUTE_PGM_RSRC2:TRAP_HANDLER: 0
; COMPUTE_PGM_RSRC2:TGID_X_EN: 1
; COMPUTE_PGM_RSRC2:TGID_Y_EN: 0
; COMPUTE_PGM_RSRC2:TGID_Z_EN: 0
; COMPUTE_PGM_RSRC2:TIDIG_COMP_CNT: 0
	.section	.text._ZN9rocsparseL22csrgemm_nnz_wf_per_rowILj256ELj8ELj64ELj79EllEEvT4_PKS1_S3_PKT3_S3_S6_S3_S6_S3_PS4_21rocsparse_index_base_S8_S8_bb,"axG",@progbits,_ZN9rocsparseL22csrgemm_nnz_wf_per_rowILj256ELj8ELj64ELj79EllEEvT4_PKS1_S3_PKT3_S3_S6_S3_S6_S3_PS4_21rocsparse_index_base_S8_S8_bb,comdat
	.globl	_ZN9rocsparseL22csrgemm_nnz_wf_per_rowILj256ELj8ELj64ELj79EllEEvT4_PKS1_S3_PKT3_S3_S6_S3_S6_S3_PS4_21rocsparse_index_base_S8_S8_bb ; -- Begin function _ZN9rocsparseL22csrgemm_nnz_wf_per_rowILj256ELj8ELj64ELj79EllEEvT4_PKS1_S3_PKT3_S3_S6_S3_S6_S3_PS4_21rocsparse_index_base_S8_S8_bb
	.p2align	8
	.type	_ZN9rocsparseL22csrgemm_nnz_wf_per_rowILj256ELj8ELj64ELj79EllEEvT4_PKS1_S3_PKT3_S3_S6_S3_S6_S3_PS4_21rocsparse_index_base_S8_S8_bb,@function
_ZN9rocsparseL22csrgemm_nnz_wf_per_rowILj256ELj8ELj64ELj79EllEEvT4_PKS1_S3_PKT3_S3_S6_S3_S6_S3_PS4_21rocsparse_index_base_S8_S8_bb: ; @_ZN9rocsparseL22csrgemm_nnz_wf_per_rowILj256ELj8ELj64ELj79EllEEvT4_PKS1_S3_PKT3_S3_S6_S3_S6_S3_PS4_21rocsparse_index_base_S8_S8_bb
; %bb.0:
	s_clause 0x2
	s_load_b64 s[24:25], s[0:1], 0x48
	s_load_b256 s[16:23], s[0:1], 0x8
	s_load_b256 s[4:11], s[0:1], 0x28
	v_and_b32_e32 v16, 7, v0
	v_lshrrev_b32_e32 v2, 3, v0
	s_mov_b32 s2, 0
	s_delay_alu instid0(VALU_DEP_2) | instskip(NEXT) | instid1(VALU_DEP_1)
	v_dual_mov_b32 v0, -1 :: v_dual_lshlrev_b32 v1, 3, v16
	v_lshl_or_b32 v4, v2, 9, v1
	s_delay_alu instid0(VALU_DEP_2)
	v_mov_b32_e32 v1, v0
	v_or_b32_e32 v3, -8, v16
.LBB46_1:                               ; =>This Inner Loop Header: Depth=1
	s_delay_alu instid0(VALU_DEP_1) | instskip(SKIP_4) | instid1(SALU_CYCLE_1)
	v_add_nc_u32_e32 v3, 8, v3
	ds_store_b64 v4, v[0:1]
	v_add_nc_u32_e32 v4, 64, v4
	v_cmp_lt_u32_e32 vcc_lo, 55, v3
	s_or_b32 s2, vcc_lo, s2
	s_and_not1_b32 exec_lo, exec_lo, s2
	s_cbranch_execnz .LBB46_1
; %bb.2:
	s_or_b32 exec_lo, exec_lo, s2
	s_load_b64 s[2:3], s[0:1], 0x0
	s_lshl_b32 s12, s15, 5
	v_mov_b32_e32 v1, 0
	v_and_or_b32 v0, 0x1fffffe0, s12, v2
	s_waitcnt lgkmcnt(0)
	buffer_gl0_inv
	v_cmp_gt_i64_e32 vcc_lo, s[2:3], v[0:1]
	s_and_saveexec_b32 s2, vcc_lo
	s_cbranch_execz .LBB46_38
; %bb.3:
	s_cmp_eq_u64 s[18:19], 0
	s_cbranch_scc1 .LBB46_5
; %bb.4:
	s_load_b64 s[2:3], s[16:17], 0x0
	v_lshlrev_b32_e32 v0, 3, v0
	s_waitcnt lgkmcnt(0)
	s_lshl_b64 s[2:3], s[2:3], 3
	s_delay_alu instid0(SALU_CYCLE_1)
	s_add_u32 s2, s18, s2
	s_addc_u32 s3, s19, s3
	global_load_b64 v[0:1], v0, s[2:3]
.LBB46_5:
	s_load_b128 s[12:15], s[0:1], 0x50
	v_dual_mov_b32 v6, 0 :: v_dual_lshlrev_b32 v17, 9, v2
	s_waitcnt vmcnt(0)
	v_lshlrev_b64 v[4:5], 3, v[0:1]
	v_mov_b32_e32 v7, 0
	s_waitcnt lgkmcnt(0)
	s_bitcmp0_b32 s15, 0
	s_cbranch_scc1 .LBB46_23
; %bb.6:
	s_delay_alu instid0(VALU_DEP_2) | instskip(SKIP_2) | instid1(VALU_DEP_1)
	v_add_co_u32 v0, vcc_lo, s20, v4
	v_add_co_ci_u32_e32 v1, vcc_lo, s21, v5, vcc_lo
	v_sub_co_u32 v6, s2, v16, s12
	v_sub_co_ci_u32_e64 v7, null, 0, 0, s2
	global_load_b128 v[0:3], v[0:1], off
	s_mov_b32 s3, exec_lo
	s_waitcnt vmcnt(0)
	v_sub_co_u32 v8, vcc_lo, v2, s12
	v_subrev_co_ci_u32_e32 v9, vcc_lo, 0, v3, vcc_lo
	v_add_co_u32 v10, vcc_lo, v6, v0
	v_add_co_ci_u32_e32 v11, vcc_lo, v7, v1, vcc_lo
	v_mov_b32_e32 v6, 0
	v_mov_b32_e32 v7, 0
	s_delay_alu instid0(VALU_DEP_3)
	v_cmpx_lt_i64_e64 v[10:11], v[8:9]
	s_cbranch_execz .LBB46_22
; %bb.7:
	v_mov_b32_e32 v6, 0
	v_mov_b32_e32 v7, 0
	s_mov_b32 s15, 0
	s_branch .LBB46_10
.LBB46_8:                               ;   in Loop: Header=BB46_10 Depth=1
	s_or_b32 exec_lo, exec_lo, s17
.LBB46_9:                               ;   in Loop: Header=BB46_10 Depth=1
	s_delay_alu instid0(SALU_CYCLE_1) | instskip(SKIP_2) | instid1(VALU_DEP_1)
	s_or_b32 exec_lo, exec_lo, s16
	v_add_co_u32 v10, vcc_lo, v10, 8
	v_add_co_ci_u32_e32 v11, vcc_lo, 0, v11, vcc_lo
	v_cmp_ge_i64_e32 vcc_lo, v[10:11], v[8:9]
	s_or_b32 s15, vcc_lo, s15
	s_delay_alu instid0(SALU_CYCLE_1)
	s_and_not1_b32 exec_lo, exec_lo, s15
	s_cbranch_execz .LBB46_21
.LBB46_10:                              ; =>This Loop Header: Depth=1
                                        ;     Child Loop BB46_13 Depth 2
                                        ;       Child Loop BB46_16 Depth 3
	v_lshlrev_b64 v[0:1], 3, v[10:11]
	s_mov_b32 s16, exec_lo
	s_delay_alu instid0(VALU_DEP_1) | instskip(NEXT) | instid1(VALU_DEP_2)
	v_add_co_u32 v0, vcc_lo, s22, v0
	v_add_co_ci_u32_e32 v1, vcc_lo, s23, v1, vcc_lo
	global_load_b64 v[0:1], v[0:1], off
	s_waitcnt vmcnt(0)
	v_sub_co_u32 v0, vcc_lo, v0, s12
	v_subrev_co_ci_u32_e32 v1, vcc_lo, 0, v1, vcc_lo
	s_delay_alu instid0(VALU_DEP_1) | instskip(NEXT) | instid1(VALU_DEP_1)
	v_lshlrev_b64 v[0:1], 3, v[0:1]
	v_add_co_u32 v0, vcc_lo, s4, v0
	s_delay_alu instid0(VALU_DEP_2)
	v_add_co_ci_u32_e32 v1, vcc_lo, s5, v1, vcc_lo
	global_load_b128 v[0:3], v[0:1], off
	s_waitcnt vmcnt(0)
	v_cmpx_lt_i64_e64 v[0:1], v[2:3]
	s_cbranch_execz .LBB46_9
; %bb.11:                               ;   in Loop: Header=BB46_10 Depth=1
	v_sub_co_u32 v2, vcc_lo, v2, s13
	v_subrev_co_ci_u32_e32 v3, vcc_lo, 0, v3, vcc_lo
	v_sub_co_u32 v0, vcc_lo, v0, s13
	v_subrev_co_ci_u32_e32 v1, vcc_lo, 0, v1, vcc_lo
	s_mov_b32 s17, 0
	s_branch .LBB46_13
.LBB46_12:                              ;   in Loop: Header=BB46_13 Depth=2
	s_or_b32 exec_lo, exec_lo, s19
	v_add_co_u32 v0, vcc_lo, v0, 1
	v_add_co_ci_u32_e32 v1, vcc_lo, 0, v1, vcc_lo
	v_cndmask_b32_e64 v12, 0, 1, s18
	s_delay_alu instid0(VALU_DEP_2) | instskip(NEXT) | instid1(VALU_DEP_2)
	v_cmp_ge_i64_e32 vcc_lo, v[0:1], v[2:3]
	v_add_co_u32 v6, s2, v6, v12
	s_delay_alu instid0(VALU_DEP_1) | instskip(SKIP_1) | instid1(SALU_CYCLE_1)
	v_add_co_ci_u32_e64 v7, s2, 0, v7, s2
	s_or_b32 s17, vcc_lo, s17
	s_and_not1_b32 exec_lo, exec_lo, s17
	s_cbranch_execz .LBB46_8
.LBB46_13:                              ;   Parent Loop BB46_10 Depth=1
                                        ; =>  This Loop Header: Depth=2
                                        ;       Child Loop BB46_16 Depth 3
	s_delay_alu instid0(VALU_DEP_1) | instskip(SKIP_1) | instid1(VALU_DEP_1)
	v_lshlrev_b64 v[12:13], 3, v[0:1]
	s_mov_b32 s19, 0
                                        ; implicit-def: $sgpr18
                                        ; implicit-def: $sgpr20
                                        ; implicit-def: $sgpr21
                                        ; implicit-def: $sgpr26
	v_add_co_u32 v12, vcc_lo, s6, v12
	s_delay_alu instid0(VALU_DEP_2) | instskip(SKIP_4) | instid1(VALU_DEP_2)
	v_add_co_ci_u32_e32 v13, vcc_lo, s7, v13, vcc_lo
	global_load_b64 v[12:13], v[12:13], off
	s_waitcnt vmcnt(0)
	v_sub_co_u32 v12, vcc_lo, v12, s13
	v_subrev_co_ci_u32_e32 v13, vcc_lo, 0, v13, vcc_lo
	v_mul_lo_u32 v14, v12, 15
	s_delay_alu instid0(VALU_DEP_1)
	v_and_b32_e32 v18, 63, v14
	s_branch .LBB46_16
.LBB46_14:                              ;   in Loop: Header=BB46_16 Depth=3
	s_or_b32 exec_lo, exec_lo, s30
	s_delay_alu instid0(SALU_CYCLE_1)
	s_and_not1_b32 s2, s21, exec_lo
	s_and_b32 s21, s29, exec_lo
	s_and_not1_b32 s20, s20, exec_lo
	s_and_b32 s26, s28, exec_lo
	s_or_b32 s21, s2, s21
	s_or_b32 s20, s20, s26
                                        ; implicit-def: $sgpr26
.LBB46_15:                              ;   in Loop: Header=BB46_16 Depth=3
	s_or_b32 exec_lo, exec_lo, s27
	s_xor_b32 s2, s20, -1
	s_delay_alu instid0(SALU_CYCLE_1) | instskip(NEXT) | instid1(SALU_CYCLE_1)
	s_and_b32 s2, exec_lo, s2
	s_or_b32 s19, s2, s19
	s_and_not1_b32 s2, s26, exec_lo
	s_and_b32 s27, s21, exec_lo
	s_and_not1_b32 s18, s18, exec_lo
	s_or_b32 s26, s2, s27
	s_or_b32 s18, s18, s27
	s_and_not1_b32 exec_lo, exec_lo, s19
	s_cbranch_execz .LBB46_12
.LBB46_16:                              ;   Parent Loop BB46_10 Depth=1
                                        ;     Parent Loop BB46_13 Depth=2
                                        ; =>    This Inner Loop Header: Depth=3
	s_delay_alu instid0(VALU_DEP_1)
	v_lshl_add_u32 v19, v18, 3, v17
	s_and_not1_b32 s21, s21, exec_lo
	s_and_not1_b32 s20, s20, exec_lo
	s_mov_b32 s27, exec_lo
	ds_load_b64 v[14:15], v19
	s_waitcnt lgkmcnt(0)
	v_cmpx_ne_u64_e64 v[14:15], v[12:13]
	s_cbranch_execz .LBB46_15
; %bb.17:                               ;   in Loop: Header=BB46_16 Depth=3
	s_mov_b32 s2, exec_lo
                                        ; implicit-def: $sgpr29
                                        ; implicit-def: $sgpr28
	v_cmpx_ne_u64_e32 -1, v[14:15]
	s_xor_b32 s2, exec_lo, s2
; %bb.18:                               ;   in Loop: Header=BB46_16 Depth=3
	v_add_nc_u32_e32 v14, 1, v18
	s_mov_b32 s28, -1
	s_and_b32 s29, s26, exec_lo
                                        ; implicit-def: $vgpr19
	s_delay_alu instid0(VALU_DEP_1)
	v_and_b32_e32 v18, 63, v14
; %bb.19:                               ;   in Loop: Header=BB46_16 Depth=3
	s_and_not1_saveexec_b32 s30, s2
	s_cbranch_execz .LBB46_14
; %bb.20:                               ;   in Loop: Header=BB46_16 Depth=3
	v_mov_b32_e32 v14, -1
	v_mov_b32_e32 v15, -1
	s_and_not1_b32 s28, s28, exec_lo
	s_and_not1_b32 s29, s29, exec_lo
	ds_cmpstore_rtn_b64 v[14:15], v19, v[12:13], v[14:15]
	s_waitcnt lgkmcnt(0)
	v_cmp_eq_u64_e32 vcc_lo, -1, v[14:15]
	v_cmp_ne_u64_e64 s2, -1, v[14:15]
	s_or_b32 s26, vcc_lo, s26
	s_delay_alu instid0(VALU_DEP_1)
	s_and_b32 s2, s2, exec_lo
	s_and_b32 s26, s26, exec_lo
	s_or_b32 s28, s28, s2
	s_or_b32 s29, s29, s26
	s_branch .LBB46_14
.LBB46_21:
	s_or_b32 exec_lo, exec_lo, s15
.LBB46_22:
	s_delay_alu instid0(SALU_CYCLE_1)
	s_or_b32 exec_lo, exec_lo, s3
.LBB46_23:
	s_load_b32 s0, s[0:1], 0x5c
	s_waitcnt lgkmcnt(0)
	s_bfe_u32 s0, s0, 0x10008
	s_delay_alu instid0(SALU_CYCLE_1)
	s_cmp_eq_u32 s0, 0
	s_cbranch_scc1 .LBB46_36
; %bb.24:
	v_add_co_u32 v0, vcc_lo, s8, v4
	v_add_co_ci_u32_e32 v1, vcc_lo, s9, v5, vcc_lo
	v_sub_co_u32 v2, s0, v16, s14
	s_delay_alu instid0(VALU_DEP_1)
	v_sub_co_ci_u32_e64 v3, null, 0, 0, s0
	global_load_b128 v[8:11], v[0:1], off
	s_mov_b32 s2, 0
	s_mov_b32 s1, exec_lo
	s_waitcnt vmcnt(0)
	v_sub_co_u32 v0, vcc_lo, v10, s14
	v_subrev_co_ci_u32_e32 v1, vcc_lo, 0, v11, vcc_lo
	v_add_co_u32 v2, vcc_lo, v2, v8
	v_add_co_ci_u32_e32 v3, vcc_lo, v3, v9, vcc_lo
	s_delay_alu instid0(VALU_DEP_1)
	v_cmpx_lt_i64_e64 v[2:3], v[0:1]
	s_cbranch_execnz .LBB46_26
	s_branch .LBB46_35
.LBB46_25:                              ;   in Loop: Header=BB46_26 Depth=1
	s_or_b32 exec_lo, exec_lo, s4
	v_add_co_u32 v2, vcc_lo, v2, 8
	v_add_co_ci_u32_e32 v3, vcc_lo, 0, v3, vcc_lo
	v_cndmask_b32_e64 v8, 0, 1, s3
	s_delay_alu instid0(VALU_DEP_2) | instskip(NEXT) | instid1(VALU_DEP_2)
	v_cmp_ge_i64_e32 vcc_lo, v[2:3], v[0:1]
	v_add_co_u32 v6, s0, v6, v8
	s_delay_alu instid0(VALU_DEP_1) | instskip(SKIP_1) | instid1(SALU_CYCLE_1)
	v_add_co_ci_u32_e64 v7, s0, 0, v7, s0
	s_or_b32 s2, vcc_lo, s2
	s_and_not1_b32 exec_lo, exec_lo, s2
	s_cbranch_execz .LBB46_34
.LBB46_26:                              ; =>This Loop Header: Depth=1
                                        ;     Child Loop BB46_29 Depth 2
	v_lshlrev_b64 v[8:9], 3, v[2:3]
	s_mov_b32 s4, 0
                                        ; implicit-def: $sgpr3
                                        ; implicit-def: $sgpr5
                                        ; implicit-def: $sgpr6
                                        ; implicit-def: $sgpr7
	s_delay_alu instid0(VALU_DEP_1) | instskip(NEXT) | instid1(VALU_DEP_2)
	v_add_co_u32 v8, vcc_lo, s10, v8
	v_add_co_ci_u32_e32 v9, vcc_lo, s11, v9, vcc_lo
	global_load_b64 v[8:9], v[8:9], off
	s_waitcnt vmcnt(0)
	v_sub_co_u32 v8, vcc_lo, v8, s14
	v_subrev_co_ci_u32_e32 v9, vcc_lo, 0, v9, vcc_lo
	s_delay_alu instid0(VALU_DEP_2) | instskip(NEXT) | instid1(VALU_DEP_1)
	v_mul_lo_u32 v10, v8, 15
	v_and_b32_e32 v12, 63, v10
	s_branch .LBB46_29
.LBB46_27:                              ;   in Loop: Header=BB46_29 Depth=2
	s_or_b32 exec_lo, exec_lo, s13
	s_delay_alu instid0(SALU_CYCLE_1)
	s_and_not1_b32 s0, s6, exec_lo
	s_and_b32 s6, s12, exec_lo
	s_and_not1_b32 s5, s5, exec_lo
	s_and_b32 s7, s9, exec_lo
	s_or_b32 s6, s0, s6
	s_or_b32 s5, s5, s7
                                        ; implicit-def: $sgpr7
.LBB46_28:                              ;   in Loop: Header=BB46_29 Depth=2
	s_or_b32 exec_lo, exec_lo, s8
	s_xor_b32 s0, s5, -1
	s_delay_alu instid0(SALU_CYCLE_1) | instskip(NEXT) | instid1(SALU_CYCLE_1)
	s_and_b32 s0, exec_lo, s0
	s_or_b32 s4, s0, s4
	s_and_not1_b32 s0, s7, exec_lo
	s_and_b32 s8, s6, exec_lo
	s_and_not1_b32 s3, s3, exec_lo
	s_or_b32 s7, s0, s8
	s_or_b32 s3, s3, s8
	s_and_not1_b32 exec_lo, exec_lo, s4
	s_cbranch_execz .LBB46_25
.LBB46_29:                              ;   Parent Loop BB46_26 Depth=1
                                        ; =>  This Inner Loop Header: Depth=2
	s_delay_alu instid0(VALU_DEP_1)
	v_lshl_add_u32 v13, v12, 3, v17
	s_and_not1_b32 s6, s6, exec_lo
	s_and_not1_b32 s5, s5, exec_lo
	s_mov_b32 s8, exec_lo
	ds_load_b64 v[10:11], v13
	s_waitcnt lgkmcnt(0)
	v_cmpx_ne_u64_e64 v[10:11], v[8:9]
	s_cbranch_execz .LBB46_28
; %bb.30:                               ;   in Loop: Header=BB46_29 Depth=2
	s_mov_b32 s0, exec_lo
                                        ; implicit-def: $sgpr12
                                        ; implicit-def: $sgpr9
	v_cmpx_ne_u64_e32 -1, v[10:11]
	s_xor_b32 s0, exec_lo, s0
; %bb.31:                               ;   in Loop: Header=BB46_29 Depth=2
	v_add_nc_u32_e32 v10, 1, v12
	s_mov_b32 s9, -1
	s_and_b32 s12, s7, exec_lo
                                        ; implicit-def: $vgpr13
	s_delay_alu instid0(VALU_DEP_1)
	v_and_b32_e32 v12, 63, v10
; %bb.32:                               ;   in Loop: Header=BB46_29 Depth=2
	s_and_not1_saveexec_b32 s13, s0
	s_cbranch_execz .LBB46_27
; %bb.33:                               ;   in Loop: Header=BB46_29 Depth=2
	v_mov_b32_e32 v10, -1
	v_mov_b32_e32 v11, -1
	s_and_not1_b32 s9, s9, exec_lo
	s_and_not1_b32 s12, s12, exec_lo
	ds_cmpstore_rtn_b64 v[10:11], v13, v[8:9], v[10:11]
	s_waitcnt lgkmcnt(0)
	v_cmp_eq_u64_e32 vcc_lo, -1, v[10:11]
	v_cmp_ne_u64_e64 s0, -1, v[10:11]
	s_or_b32 s7, vcc_lo, s7
	s_delay_alu instid0(VALU_DEP_1)
	s_and_b32 s0, s0, exec_lo
	s_and_b32 s7, s7, exec_lo
	s_or_b32 s9, s9, s0
	s_or_b32 s12, s12, s7
	s_branch .LBB46_27
.LBB46_34:
	s_or_b32 exec_lo, exec_lo, s2
.LBB46_35:
	s_delay_alu instid0(SALU_CYCLE_1)
	s_or_b32 exec_lo, exec_lo, s1
.LBB46_36:
	v_mbcnt_lo_u32_b32 v0, -1, 0
	s_delay_alu instid0(VALU_DEP_1) | instskip(SKIP_1) | instid1(VALU_DEP_2)
	v_xor_b32_e32 v1, 4, v0
	v_xor_b32_e32 v3, 2, v0
	v_cmp_gt_i32_e32 vcc_lo, 32, v1
	v_cndmask_b32_e32 v1, v0, v1, vcc_lo
	s_delay_alu instid0(VALU_DEP_3) | instskip(NEXT) | instid1(VALU_DEP_2)
	v_cmp_gt_i32_e32 vcc_lo, 32, v3
	v_lshlrev_b32_e32 v1, 2, v1
	v_cndmask_b32_e32 v3, v0, v3, vcc_lo
	ds_bpermute_b32 v2, v1, v6
	ds_bpermute_b32 v1, v1, v7
	v_lshlrev_b32_e32 v3, 2, v3
	s_waitcnt lgkmcnt(1)
	v_add_co_u32 v2, vcc_lo, v6, v2
	v_add_co_ci_u32_e32 v6, vcc_lo, 0, v7, vcc_lo
	ds_bpermute_b32 v7, v3, v2
	v_add_co_u32 v2, vcc_lo, 0, v2
	s_waitcnt lgkmcnt(1)
	v_add_co_ci_u32_e32 v1, vcc_lo, v1, v6, vcc_lo
	v_xor_b32_e32 v6, 1, v0
	ds_bpermute_b32 v3, v3, v1
	v_cmp_gt_i32_e32 vcc_lo, 32, v6
	v_cndmask_b32_e32 v0, v0, v6, vcc_lo
	s_delay_alu instid0(VALU_DEP_1) | instskip(SKIP_3) | instid1(VALU_DEP_2)
	v_lshlrev_b32_e32 v0, 2, v0
	s_waitcnt lgkmcnt(1)
	v_add_co_u32 v6, vcc_lo, v2, v7
	v_add_co_ci_u32_e32 v2, vcc_lo, 0, v1, vcc_lo
	v_add_co_u32 v1, vcc_lo, v6, 0
	s_waitcnt lgkmcnt(0)
	s_delay_alu instid0(VALU_DEP_2)
	v_add_co_ci_u32_e32 v2, vcc_lo, v2, v3, vcc_lo
	ds_bpermute_b32 v3, v0, v6
	v_cmp_eq_u32_e32 vcc_lo, 7, v16
	ds_bpermute_b32 v0, v0, v2
	s_and_b32 exec_lo, exec_lo, vcc_lo
	s_cbranch_execz .LBB46_38
; %bb.37:
	s_waitcnt lgkmcnt(1)
	v_add_co_u32 v3, vcc_lo, v1, v3
	v_add_co_ci_u32_e32 v6, vcc_lo, 0, v2, vcc_lo
	v_add_co_u32 v1, vcc_lo, s24, v4
	v_add_co_ci_u32_e32 v2, vcc_lo, s25, v5, vcc_lo
	s_delay_alu instid0(VALU_DEP_4)
	v_add_co_u32 v3, vcc_lo, v3, 0
	s_waitcnt lgkmcnt(0)
	v_add_co_ci_u32_e32 v4, vcc_lo, v6, v0, vcc_lo
	global_store_b64 v[1:2], v[3:4], off
.LBB46_38:
	s_nop 0
	s_sendmsg sendmsg(MSG_DEALLOC_VGPRS)
	s_endpgm
	.section	.rodata,"a",@progbits
	.p2align	6, 0x0
	.amdhsa_kernel _ZN9rocsparseL22csrgemm_nnz_wf_per_rowILj256ELj8ELj64ELj79EllEEvT4_PKS1_S3_PKT3_S3_S6_S3_S6_S3_PS4_21rocsparse_index_base_S8_S8_bb
		.amdhsa_group_segment_fixed_size 16384
		.amdhsa_private_segment_fixed_size 0
		.amdhsa_kernarg_size 96
		.amdhsa_user_sgpr_count 15
		.amdhsa_user_sgpr_dispatch_ptr 0
		.amdhsa_user_sgpr_queue_ptr 0
		.amdhsa_user_sgpr_kernarg_segment_ptr 1
		.amdhsa_user_sgpr_dispatch_id 0
		.amdhsa_user_sgpr_private_segment_size 0
		.amdhsa_wavefront_size32 1
		.amdhsa_uses_dynamic_stack 0
		.amdhsa_enable_private_segment 0
		.amdhsa_system_sgpr_workgroup_id_x 1
		.amdhsa_system_sgpr_workgroup_id_y 0
		.amdhsa_system_sgpr_workgroup_id_z 0
		.amdhsa_system_sgpr_workgroup_info 0
		.amdhsa_system_vgpr_workitem_id 0
		.amdhsa_next_free_vgpr 20
		.amdhsa_next_free_sgpr 31
		.amdhsa_reserve_vcc 1
		.amdhsa_float_round_mode_32 0
		.amdhsa_float_round_mode_16_64 0
		.amdhsa_float_denorm_mode_32 3
		.amdhsa_float_denorm_mode_16_64 3
		.amdhsa_dx10_clamp 1
		.amdhsa_ieee_mode 1
		.amdhsa_fp16_overflow 0
		.amdhsa_workgroup_processor_mode 1
		.amdhsa_memory_ordered 1
		.amdhsa_forward_progress 0
		.amdhsa_shared_vgpr_count 0
		.amdhsa_exception_fp_ieee_invalid_op 0
		.amdhsa_exception_fp_denorm_src 0
		.amdhsa_exception_fp_ieee_div_zero 0
		.amdhsa_exception_fp_ieee_overflow 0
		.amdhsa_exception_fp_ieee_underflow 0
		.amdhsa_exception_fp_ieee_inexact 0
		.amdhsa_exception_int_div_zero 0
	.end_amdhsa_kernel
	.section	.text._ZN9rocsparseL22csrgemm_nnz_wf_per_rowILj256ELj8ELj64ELj79EllEEvT4_PKS1_S3_PKT3_S3_S6_S3_S6_S3_PS4_21rocsparse_index_base_S8_S8_bb,"axG",@progbits,_ZN9rocsparseL22csrgemm_nnz_wf_per_rowILj256ELj8ELj64ELj79EllEEvT4_PKS1_S3_PKT3_S3_S6_S3_S6_S3_PS4_21rocsparse_index_base_S8_S8_bb,comdat
.Lfunc_end46:
	.size	_ZN9rocsparseL22csrgemm_nnz_wf_per_rowILj256ELj8ELj64ELj79EllEEvT4_PKS1_S3_PKT3_S3_S6_S3_S6_S3_PS4_21rocsparse_index_base_S8_S8_bb, .Lfunc_end46-_ZN9rocsparseL22csrgemm_nnz_wf_per_rowILj256ELj8ELj64ELj79EllEEvT4_PKS1_S3_PKT3_S3_S6_S3_S6_S3_PS4_21rocsparse_index_base_S8_S8_bb
                                        ; -- End function
	.section	.AMDGPU.csdata,"",@progbits
; Kernel info:
; codeLenInByte = 1712
; NumSgprs: 33
; NumVgprs: 20
; ScratchSize: 0
; MemoryBound: 0
; FloatMode: 240
; IeeeMode: 1
; LDSByteSize: 16384 bytes/workgroup (compile time only)
; SGPRBlocks: 4
; VGPRBlocks: 2
; NumSGPRsForWavesPerEU: 33
; NumVGPRsForWavesPerEU: 20
; Occupancy: 16
; WaveLimiterHint : 1
; COMPUTE_PGM_RSRC2:SCRATCH_EN: 0
; COMPUTE_PGM_RSRC2:USER_SGPR: 15
; COMPUTE_PGM_RSRC2:TRAP_HANDLER: 0
; COMPUTE_PGM_RSRC2:TGID_X_EN: 1
; COMPUTE_PGM_RSRC2:TGID_Y_EN: 0
; COMPUTE_PGM_RSRC2:TGID_Z_EN: 0
; COMPUTE_PGM_RSRC2:TIDIG_COMP_CNT: 0
	.section	.text._ZN9rocsparseL25csrgemm_nnz_block_per_rowILj128ELj8ELj512ELj79EllEEvPKT4_S3_PKT3_S3_S6_S3_S6_S3_PS4_21rocsparse_index_base_S8_S8_bb,"axG",@progbits,_ZN9rocsparseL25csrgemm_nnz_block_per_rowILj128ELj8ELj512ELj79EllEEvPKT4_S3_PKT3_S3_S6_S3_S6_S3_PS4_21rocsparse_index_base_S8_S8_bb,comdat
	.globl	_ZN9rocsparseL25csrgemm_nnz_block_per_rowILj128ELj8ELj512ELj79EllEEvPKT4_S3_PKT3_S3_S6_S3_S6_S3_PS4_21rocsparse_index_base_S8_S8_bb ; -- Begin function _ZN9rocsparseL25csrgemm_nnz_block_per_rowILj128ELj8ELj512ELj79EllEEvPKT4_S3_PKT3_S3_S6_S3_S6_S3_PS4_21rocsparse_index_base_S8_S8_bb
	.p2align	8
	.type	_ZN9rocsparseL25csrgemm_nnz_block_per_rowILj128ELj8ELj512ELj79EllEEvPKT4_S3_PKT3_S3_S6_S3_S6_S3_PS4_21rocsparse_index_base_S8_S8_bb,@function
_ZN9rocsparseL25csrgemm_nnz_block_per_rowILj128ELj8ELj512ELj79EllEEvPKT4_S3_PKT3_S3_S6_S3_S6_S3_PS4_21rocsparse_index_base_S8_S8_bb: ; @_ZN9rocsparseL25csrgemm_nnz_block_per_rowILj128ELj8ELj512ELj79EllEEvPKT4_S3_PKT3_S3_S6_S3_S6_S3_PS4_21rocsparse_index_base_S8_S8_bb
; %bb.0:
	s_mov_b32 s2, s15
	s_load_b256 s[8:15], s[0:1], 0x0
	s_mov_b32 s3, 0
	s_load_b64 s[20:21], s[0:1], 0x40
	v_lshl_add_u32 v13, v0, 3, 0
	s_waitcnt lgkmcnt(0)
	s_load_b64 s[4:5], s[8:9], 0x0
	s_waitcnt lgkmcnt(0)
	s_lshl_b64 s[4:5], s[4:5], 3
	s_delay_alu instid0(SALU_CYCLE_1)
	s_add_u32 s6, s10, s4
	s_addc_u32 s7, s11, s5
	s_lshl_b64 s[4:5], s[2:3], 3
	s_mov_b32 s2, exec_lo
	s_add_u32 s16, s6, s4
	s_addc_u32 s17, s7, s5
	s_load_b256 s[4:11], s[0:1], 0x20
	s_load_b64 s[22:23], s[16:17], 0x0
	v_cmpx_gt_u32_e32 0x200, v0
	s_cbranch_execz .LBB47_3
; %bb.1:
	v_dual_mov_b32 v1, -1 :: v_dual_mov_b32 v4, v13
	v_or_b32_e32 v3, 0xffffff80, v0
	s_delay_alu instid0(VALU_DEP_2)
	v_mov_b32_e32 v2, v1
.LBB47_2:                               ; =>This Inner Loop Header: Depth=1
	s_delay_alu instid0(VALU_DEP_2) | instskip(SKIP_4) | instid1(SALU_CYCLE_1)
	v_add_nc_u32_e32 v3, 0x80, v3
	ds_store_b64 v4, v[1:2]
	v_add_nc_u32_e32 v4, 0x400, v4
	v_cmp_lt_u32_e32 vcc_lo, 0x17f, v3
	s_or_b32 s3, vcc_lo, s3
	s_and_not1_b32 exec_lo, exec_lo, s3
	s_cbranch_execnz .LBB47_2
.LBB47_3:
	s_or_b32 exec_lo, exec_lo, s2
	s_load_b128 s[16:19], s[0:1], 0x48
	v_mov_b32_e32 v1, 0
	v_dual_mov_b32 v2, 0 :: v_dual_and_b32 v15, 7, v0
	v_lshrrev_b32_e32 v14, 3, v0
	s_waitcnt lgkmcnt(0)
	s_barrier
	buffer_gl0_inv
	s_bitcmp1_b32 s19, 0
	s_cselect_b32 s2, -1, 0
	s_delay_alu instid0(SALU_CYCLE_1)
	s_and_b32 vcc_lo, exec_lo, s2
	s_cbranch_vccz .LBB47_21
; %bb.4:
	s_lshl_b64 s[2:3], s[22:23], 3
	s_mov_b32 s19, 0
	s_add_u32 s2, s12, s2
	s_addc_u32 s3, s13, s3
	s_load_b128 s[24:27], s[2:3], 0x0
	v_sub_co_u32 v1, s2, v14, s16
	s_delay_alu instid0(VALU_DEP_1) | instskip(SKIP_2) | instid1(VALU_DEP_2)
	v_sub_co_ci_u32_e64 v2, null, 0, 0, s2
	s_mov_b32 s3, exec_lo
	s_waitcnt lgkmcnt(0)
	v_add_co_u32 v3, vcc_lo, v1, s24
	s_delay_alu instid0(VALU_DEP_2) | instskip(SKIP_4) | instid1(SALU_CYCLE_1)
	v_add_co_ci_u32_e32 v4, vcc_lo, s25, v2, vcc_lo
	v_mov_b32_e32 v1, 0
	v_mov_b32_e32 v2, 0
	s_sub_u32 s12, s26, s16
	s_subb_u32 s13, s27, 0
	v_cmpx_gt_i64_e64 s[12:13], v[3:4]
	s_cbranch_execz .LBB47_20
; %bb.5:
	v_sub_co_u32 v16, s2, v15, s17
	v_mov_b32_e32 v1, 0
	v_mov_b32_e32 v2, 0
	v_sub_co_ci_u32_e64 v17, null, 0, 0, s2
	s_branch .LBB47_8
.LBB47_6:                               ;   in Loop: Header=BB47_8 Depth=1
	s_or_b32 exec_lo, exec_lo, s25
.LBB47_7:                               ;   in Loop: Header=BB47_8 Depth=1
	s_delay_alu instid0(SALU_CYCLE_1) | instskip(SKIP_2) | instid1(VALU_DEP_1)
	s_or_b32 exec_lo, exec_lo, s24
	v_add_co_u32 v3, vcc_lo, v3, 16
	v_add_co_ci_u32_e32 v4, vcc_lo, 0, v4, vcc_lo
	v_cmp_le_i64_e32 vcc_lo, s[12:13], v[3:4]
	s_or_b32 s19, vcc_lo, s19
	s_delay_alu instid0(SALU_CYCLE_1)
	s_and_not1_b32 exec_lo, exec_lo, s19
	s_cbranch_execz .LBB47_19
.LBB47_8:                               ; =>This Loop Header: Depth=1
                                        ;     Child Loop BB47_11 Depth 2
                                        ;       Child Loop BB47_14 Depth 3
	v_lshlrev_b64 v[5:6], 3, v[3:4]
	s_mov_b32 s24, exec_lo
	s_delay_alu instid0(VALU_DEP_1) | instskip(NEXT) | instid1(VALU_DEP_2)
	v_add_co_u32 v5, vcc_lo, s14, v5
	v_add_co_ci_u32_e32 v6, vcc_lo, s15, v6, vcc_lo
	global_load_b64 v[5:6], v[5:6], off
	s_waitcnt vmcnt(0)
	v_sub_co_u32 v5, vcc_lo, v5, s16
	v_subrev_co_ci_u32_e32 v6, vcc_lo, 0, v6, vcc_lo
	s_delay_alu instid0(VALU_DEP_1) | instskip(NEXT) | instid1(VALU_DEP_1)
	v_lshlrev_b64 v[5:6], 3, v[5:6]
	v_add_co_u32 v5, vcc_lo, s4, v5
	s_delay_alu instid0(VALU_DEP_2)
	v_add_co_ci_u32_e32 v6, vcc_lo, s5, v6, vcc_lo
	global_load_b128 v[7:10], v[5:6], off
	s_waitcnt vmcnt(0)
	v_sub_co_u32 v5, vcc_lo, v9, s17
	v_subrev_co_ci_u32_e32 v6, vcc_lo, 0, v10, vcc_lo
	v_add_co_u32 v7, vcc_lo, v16, v7
	v_add_co_ci_u32_e32 v8, vcc_lo, v17, v8, vcc_lo
	s_delay_alu instid0(VALU_DEP_1)
	v_cmpx_lt_i64_e64 v[7:8], v[5:6]
	s_cbranch_execz .LBB47_7
; %bb.9:                                ;   in Loop: Header=BB47_8 Depth=1
	s_mov_b32 s25, 0
	s_branch .LBB47_11
.LBB47_10:                              ;   in Loop: Header=BB47_11 Depth=2
	s_or_b32 exec_lo, exec_lo, s27
	v_add_co_u32 v7, vcc_lo, v7, 8
	v_add_co_ci_u32_e32 v8, vcc_lo, 0, v8, vcc_lo
	v_cndmask_b32_e64 v9, 0, 1, s26
	s_delay_alu instid0(VALU_DEP_2) | instskip(NEXT) | instid1(VALU_DEP_2)
	v_cmp_ge_i64_e32 vcc_lo, v[7:8], v[5:6]
	v_add_co_u32 v1, s2, v1, v9
	s_delay_alu instid0(VALU_DEP_1) | instskip(SKIP_1) | instid1(SALU_CYCLE_1)
	v_add_co_ci_u32_e64 v2, s2, 0, v2, s2
	s_or_b32 s25, vcc_lo, s25
	s_and_not1_b32 exec_lo, exec_lo, s25
	s_cbranch_execz .LBB47_6
.LBB47_11:                              ;   Parent Loop BB47_8 Depth=1
                                        ; =>  This Loop Header: Depth=2
                                        ;       Child Loop BB47_14 Depth 3
	v_lshlrev_b64 v[9:10], 3, v[7:8]
	s_mov_b32 s27, 0
                                        ; implicit-def: $sgpr26
                                        ; implicit-def: $sgpr28
                                        ; implicit-def: $sgpr29
                                        ; implicit-def: $sgpr30
	s_delay_alu instid0(VALU_DEP_1) | instskip(NEXT) | instid1(VALU_DEP_2)
	v_add_co_u32 v9, vcc_lo, s6, v9
	v_add_co_ci_u32_e32 v10, vcc_lo, s7, v10, vcc_lo
	global_load_b64 v[9:10], v[9:10], off
	s_waitcnt vmcnt(0)
	v_sub_co_u32 v9, vcc_lo, v9, s17
	v_subrev_co_ci_u32_e32 v10, vcc_lo, 0, v10, vcc_lo
	s_delay_alu instid0(VALU_DEP_2) | instskip(NEXT) | instid1(VALU_DEP_1)
	v_mul_lo_u32 v11, 0x4f, v9
	v_and_b32_e32 v18, 0x1ff, v11
	s_branch .LBB47_14
.LBB47_12:                              ;   in Loop: Header=BB47_14 Depth=3
	s_or_b32 exec_lo, exec_lo, s35
	s_delay_alu instid0(SALU_CYCLE_1)
	s_and_not1_b32 s2, s29, exec_lo
	s_and_b32 s29, s34, exec_lo
	s_and_not1_b32 s28, s28, exec_lo
	s_and_b32 s30, s33, exec_lo
	s_or_b32 s29, s2, s29
	s_or_b32 s28, s28, s30
                                        ; implicit-def: $sgpr30
.LBB47_13:                              ;   in Loop: Header=BB47_14 Depth=3
	s_or_b32 exec_lo, exec_lo, s31
	s_xor_b32 s2, s28, -1
	s_delay_alu instid0(SALU_CYCLE_1) | instskip(NEXT) | instid1(SALU_CYCLE_1)
	s_and_b32 s2, exec_lo, s2
	s_or_b32 s27, s2, s27
	s_and_not1_b32 s2, s30, exec_lo
	s_and_b32 s31, s29, exec_lo
	s_and_not1_b32 s26, s26, exec_lo
	s_or_b32 s30, s2, s31
	s_or_b32 s26, s26, s31
	s_and_not1_b32 exec_lo, exec_lo, s27
	s_cbranch_execz .LBB47_10
.LBB47_14:                              ;   Parent Loop BB47_8 Depth=1
                                        ;     Parent Loop BB47_11 Depth=2
                                        ; =>    This Inner Loop Header: Depth=3
	s_delay_alu instid0(VALU_DEP_1)
	v_lshl_add_u32 v19, v18, 3, 0
	s_and_not1_b32 s29, s29, exec_lo
	s_and_not1_b32 s28, s28, exec_lo
	s_mov_b32 s31, exec_lo
	ds_load_b64 v[11:12], v19
	s_waitcnt lgkmcnt(0)
	v_cmpx_ne_u64_e64 v[11:12], v[9:10]
	s_cbranch_execz .LBB47_13
; %bb.15:                               ;   in Loop: Header=BB47_14 Depth=3
	s_mov_b32 s2, exec_lo
                                        ; implicit-def: $sgpr34
                                        ; implicit-def: $sgpr33
	v_cmpx_ne_u64_e32 -1, v[11:12]
	s_xor_b32 s2, exec_lo, s2
; %bb.16:                               ;   in Loop: Header=BB47_14 Depth=3
	v_add_nc_u32_e32 v11, 1, v18
	s_mov_b32 s33, -1
	s_and_b32 s34, s30, exec_lo
                                        ; implicit-def: $vgpr19
	s_delay_alu instid0(VALU_DEP_1)
	v_and_b32_e32 v18, 0x1ff, v11
; %bb.17:                               ;   in Loop: Header=BB47_14 Depth=3
	s_and_not1_saveexec_b32 s35, s2
	s_cbranch_execz .LBB47_12
; %bb.18:                               ;   in Loop: Header=BB47_14 Depth=3
	v_mov_b32_e32 v11, -1
	v_mov_b32_e32 v12, -1
	s_and_not1_b32 s33, s33, exec_lo
	s_and_not1_b32 s34, s34, exec_lo
	ds_cmpstore_rtn_b64 v[11:12], v19, v[9:10], v[11:12]
	s_waitcnt lgkmcnt(0)
	v_cmp_eq_u64_e32 vcc_lo, -1, v[11:12]
	v_cmp_ne_u64_e64 s2, -1, v[11:12]
	s_or_b32 s30, vcc_lo, s30
	s_delay_alu instid0(VALU_DEP_1)
	s_and_b32 s2, s2, exec_lo
	s_and_b32 s30, s30, exec_lo
	s_or_b32 s33, s33, s2
	s_or_b32 s34, s34, s30
	s_branch .LBB47_12
.LBB47_19:
	s_or_b32 exec_lo, exec_lo, s19
.LBB47_20:
	s_delay_alu instid0(SALU_CYCLE_1)
	s_or_b32 exec_lo, exec_lo, s3
.LBB47_21:
	s_load_b32 s0, s[0:1], 0x54
	s_waitcnt lgkmcnt(0)
	s_bfe_u32 s0, s0, 0x10008
	s_delay_alu instid0(SALU_CYCLE_1)
	s_cmp_eq_u32 s0, 0
	s_cbranch_scc1 .LBB47_35
; %bb.22:
	s_lshl_b64 s[0:1], s[22:23], 3
	v_sub_co_u32 v3, s4, v14, s18
	s_add_u32 s0, s8, s0
	s_addc_u32 s1, s9, s1
	v_sub_co_ci_u32_e64 v4, null, 0, 0, s4
	s_load_b128 s[0:3], s[0:1], 0x0
	s_waitcnt lgkmcnt(0)
	v_add_co_u32 v3, vcc_lo, v3, s0
	s_delay_alu instid0(VALU_DEP_2) | instskip(SKIP_3) | instid1(VALU_DEP_1)
	v_add_co_ci_u32_e32 v4, vcc_lo, s1, v4, vcc_lo
	s_sub_u32 s2, s2, s18
	s_subb_u32 s3, s3, 0
	s_mov_b32 s1, exec_lo
	v_cmpx_gt_i64_e64 s[2:3], v[3:4]
	s_cbranch_execz .LBB47_34
; %bb.23:
	s_mov_b32 s4, 0
	s_branch .LBB47_25
.LBB47_24:                              ;   in Loop: Header=BB47_25 Depth=1
	s_or_b32 exec_lo, exec_lo, s6
	v_add_co_u32 v3, vcc_lo, v3, 16
	v_add_co_ci_u32_e32 v4, vcc_lo, 0, v4, vcc_lo
	v_cndmask_b32_e64 v5, 0, 1, s5
	s_delay_alu instid0(VALU_DEP_2) | instskip(NEXT) | instid1(VALU_DEP_2)
	v_cmp_le_i64_e32 vcc_lo, s[2:3], v[3:4]
	v_add_co_u32 v1, s0, v1, v5
	s_delay_alu instid0(VALU_DEP_1) | instskip(SKIP_1) | instid1(SALU_CYCLE_1)
	v_add_co_ci_u32_e64 v2, s0, 0, v2, s0
	s_or_b32 s4, vcc_lo, s4
	s_and_not1_b32 exec_lo, exec_lo, s4
	s_cbranch_execz .LBB47_33
.LBB47_25:                              ; =>This Loop Header: Depth=1
                                        ;     Child Loop BB47_28 Depth 2
	v_lshlrev_b64 v[5:6], 3, v[3:4]
	s_mov_b32 s6, 0
                                        ; implicit-def: $sgpr5
                                        ; implicit-def: $sgpr7
                                        ; implicit-def: $sgpr8
                                        ; implicit-def: $sgpr9
	s_delay_alu instid0(VALU_DEP_1) | instskip(NEXT) | instid1(VALU_DEP_2)
	v_add_co_u32 v5, vcc_lo, s10, v5
	v_add_co_ci_u32_e32 v6, vcc_lo, s11, v6, vcc_lo
	global_load_b64 v[5:6], v[5:6], off
	s_waitcnt vmcnt(0)
	v_sub_co_u32 v5, vcc_lo, v5, s18
	v_subrev_co_ci_u32_e32 v6, vcc_lo, 0, v6, vcc_lo
	s_delay_alu instid0(VALU_DEP_2) | instskip(NEXT) | instid1(VALU_DEP_1)
	v_mul_lo_u32 v7, 0x4f, v5
	v_and_b32_e32 v9, 0x1ff, v7
	s_branch .LBB47_28
.LBB47_26:                              ;   in Loop: Header=BB47_28 Depth=2
	s_or_b32 exec_lo, exec_lo, s15
	s_delay_alu instid0(SALU_CYCLE_1)
	s_and_not1_b32 s0, s8, exec_lo
	s_and_b32 s8, s14, exec_lo
	s_and_not1_b32 s7, s7, exec_lo
	s_and_b32 s9, s13, exec_lo
	s_or_b32 s8, s0, s8
	s_or_b32 s7, s7, s9
                                        ; implicit-def: $sgpr9
.LBB47_27:                              ;   in Loop: Header=BB47_28 Depth=2
	s_or_b32 exec_lo, exec_lo, s12
	s_xor_b32 s0, s7, -1
	s_delay_alu instid0(SALU_CYCLE_1) | instskip(NEXT) | instid1(SALU_CYCLE_1)
	s_and_b32 s0, exec_lo, s0
	s_or_b32 s6, s0, s6
	s_and_not1_b32 s0, s9, exec_lo
	s_and_b32 s12, s8, exec_lo
	s_and_not1_b32 s5, s5, exec_lo
	s_or_b32 s9, s0, s12
	s_or_b32 s5, s5, s12
	s_and_not1_b32 exec_lo, exec_lo, s6
	s_cbranch_execz .LBB47_24
.LBB47_28:                              ;   Parent Loop BB47_25 Depth=1
                                        ; =>  This Inner Loop Header: Depth=2
	s_delay_alu instid0(VALU_DEP_1)
	v_lshl_add_u32 v10, v9, 3, 0
	s_and_not1_b32 s8, s8, exec_lo
	s_and_not1_b32 s7, s7, exec_lo
	s_mov_b32 s12, exec_lo
	ds_load_b64 v[7:8], v10
	s_waitcnt lgkmcnt(0)
	v_cmpx_ne_u64_e64 v[7:8], v[5:6]
	s_cbranch_execz .LBB47_27
; %bb.29:                               ;   in Loop: Header=BB47_28 Depth=2
	s_mov_b32 s0, exec_lo
                                        ; implicit-def: $sgpr14
                                        ; implicit-def: $sgpr13
	v_cmpx_ne_u64_e32 -1, v[7:8]
	s_xor_b32 s0, exec_lo, s0
; %bb.30:                               ;   in Loop: Header=BB47_28 Depth=2
	v_add_nc_u32_e32 v7, 1, v9
	s_mov_b32 s13, -1
	s_and_b32 s14, s9, exec_lo
                                        ; implicit-def: $vgpr10
	s_delay_alu instid0(VALU_DEP_1)
	v_and_b32_e32 v9, 0x1ff, v7
; %bb.31:                               ;   in Loop: Header=BB47_28 Depth=2
	s_and_not1_saveexec_b32 s15, s0
	s_cbranch_execz .LBB47_26
; %bb.32:                               ;   in Loop: Header=BB47_28 Depth=2
	v_mov_b32_e32 v7, -1
	v_mov_b32_e32 v8, -1
	s_and_not1_b32 s13, s13, exec_lo
	s_and_not1_b32 s14, s14, exec_lo
	ds_cmpstore_rtn_b64 v[7:8], v10, v[5:6], v[7:8]
	s_waitcnt lgkmcnt(0)
	v_cmp_eq_u64_e32 vcc_lo, -1, v[7:8]
	v_cmp_ne_u64_e64 s0, -1, v[7:8]
	s_or_b32 s9, vcc_lo, s9
	s_delay_alu instid0(VALU_DEP_1)
	s_and_b32 s0, s0, exec_lo
	s_and_b32 s9, s9, exec_lo
	s_or_b32 s13, s13, s0
	s_or_b32 s14, s14, s9
	s_branch .LBB47_26
.LBB47_33:
	s_or_b32 exec_lo, exec_lo, s4
.LBB47_34:
	s_delay_alu instid0(SALU_CYCLE_1)
	s_or_b32 exec_lo, exec_lo, s1
.LBB47_35:
	v_mbcnt_lo_u32_b32 v5, -1, 0
	s_mov_b32 s0, exec_lo
	s_barrier
	buffer_gl0_inv
	v_xor_b32_e32 v3, 4, v5
	v_xor_b32_e32 v4, 2, v5
	;; [unrolled: 1-line block ×3, first 2 shown]
	s_delay_alu instid0(VALU_DEP_3) | instskip(SKIP_1) | instid1(VALU_DEP_4)
	v_cmp_gt_i32_e32 vcc_lo, 32, v3
	v_cndmask_b32_e32 v3, v5, v3, vcc_lo
	v_cmp_gt_i32_e32 vcc_lo, 32, v4
	v_cndmask_b32_e32 v4, v5, v4, vcc_lo
	s_delay_alu instid0(VALU_DEP_1) | instskip(NEXT) | instid1(VALU_DEP_4)
	v_lshlrev_b32_e32 v4, 2, v4
	v_lshlrev_b32_e32 v3, 2, v3
	ds_bpermute_b32 v6, v3, v1
	ds_bpermute_b32 v7, v3, v2
	s_waitcnt lgkmcnt(1)
	v_add_co_u32 v1, vcc_lo, v1, v6
	v_add_co_ci_u32_e32 v2, vcc_lo, 0, v2, vcc_lo
	ds_bpermute_b32 v6, v4, v1
	v_add_co_u32 v1, vcc_lo, 0, v1
	s_waitcnt lgkmcnt(1)
	v_add_co_ci_u32_e32 v2, vcc_lo, v7, v2, vcc_lo
	v_cmp_gt_i32_e32 vcc_lo, 32, v8
	ds_bpermute_b32 v7, v4, v2
	v_cndmask_b32_e32 v8, v5, v8, vcc_lo
	s_waitcnt lgkmcnt(1)
	v_add_co_u32 v1, vcc_lo, v1, v6
	v_add_co_ci_u32_e32 v9, vcc_lo, 0, v2, vcc_lo
	s_delay_alu instid0(VALU_DEP_3) | instskip(NEXT) | instid1(VALU_DEP_3)
	v_lshlrev_b32_e32 v6, 2, v8
	v_add_co_u32 v2, vcc_lo, v1, 0
	s_waitcnt lgkmcnt(0)
	s_delay_alu instid0(VALU_DEP_3)
	v_add_co_ci_u32_e32 v7, vcc_lo, v9, v7, vcc_lo
	ds_bpermute_b32 v8, v6, v1
	ds_bpermute_b32 v1, v6, v7
	v_cmpx_eq_u32_e32 7, v15
	s_cbranch_execz .LBB47_37
; %bb.36:
	s_waitcnt lgkmcnt(1)
	v_add_co_u32 v2, vcc_lo, v2, v8
	v_add_co_ci_u32_e32 v8, vcc_lo, 0, v7, vcc_lo
	v_lshl_add_u32 v9, v14, 3, 0
	s_delay_alu instid0(VALU_DEP_3) | instskip(SKIP_1) | instid1(VALU_DEP_3)
	v_add_co_u32 v7, vcc_lo, v2, 0
	s_waitcnt lgkmcnt(0)
	v_add_co_ci_u32_e32 v8, vcc_lo, v8, v1, vcc_lo
	ds_store_b64 v9, v[7:8]
.LBB47_37:
	s_or_b32 exec_lo, exec_lo, s0
	s_waitcnt lgkmcnt(0)
	v_mov_b32_e32 v1, 0
	v_mov_b32_e32 v2, 0
	s_mov_b32 s0, exec_lo
	s_barrier
	buffer_gl0_inv
	v_cmpx_gt_u32_e32 16, v0
	s_cbranch_execz .LBB47_39
; %bb.38:
	ds_load_b64 v[1:2], v13
.LBB47_39:
	s_or_b32 exec_lo, exec_lo, s0
	v_xor_b32_e32 v7, 8, v5
	s_mov_b32 s0, exec_lo
	s_delay_alu instid0(VALU_DEP_1) | instskip(SKIP_1) | instid1(VALU_DEP_1)
	v_cmp_gt_i32_e32 vcc_lo, 32, v7
	v_cndmask_b32_e32 v5, v5, v7, vcc_lo
	v_lshlrev_b32_e32 v5, 2, v5
	s_waitcnt lgkmcnt(0)
	ds_bpermute_b32 v7, v5, v1
	ds_bpermute_b32 v5, v5, v2
	s_waitcnt lgkmcnt(1)
	v_add_co_u32 v1, vcc_lo, v1, v7
	v_add_co_ci_u32_e32 v2, vcc_lo, 0, v2, vcc_lo
	ds_bpermute_b32 v7, v3, v1
	v_add_co_u32 v1, vcc_lo, 0, v1
	s_waitcnt lgkmcnt(1)
	v_add_co_ci_u32_e32 v2, vcc_lo, v5, v2, vcc_lo
	ds_bpermute_b32 v3, v3, v2
	s_waitcnt lgkmcnt(1)
	v_add_co_u32 v1, vcc_lo, v1, v7
	v_add_co_ci_u32_e32 v2, vcc_lo, 0, v2, vcc_lo
	ds_bpermute_b32 v5, v4, v1
	v_add_co_u32 v1, vcc_lo, v1, 0
	s_waitcnt lgkmcnt(1)
	v_add_co_ci_u32_e32 v2, vcc_lo, v2, v3, vcc_lo
	ds_bpermute_b32 v3, v4, v2
	s_waitcnt lgkmcnt(1)
	v_add_co_u32 v1, vcc_lo, v1, v5
	v_add_co_ci_u32_e32 v4, vcc_lo, 0, v2, vcc_lo
	s_delay_alu instid0(VALU_DEP_2) | instskip(SKIP_1) | instid1(VALU_DEP_2)
	v_add_co_u32 v2, vcc_lo, v1, 0
	s_waitcnt lgkmcnt(0)
	v_add_co_ci_u32_e32 v3, vcc_lo, v4, v3, vcc_lo
	ds_bpermute_b32 v4, v6, v1
	ds_bpermute_b32 v1, v6, v3
	v_cmpx_eq_u32_e32 15, v0
	s_cbranch_execz .LBB47_41
; %bb.40:
	s_waitcnt lgkmcnt(1)
	v_add_co_u32 v0, vcc_lo, v2, v4
	v_add_co_ci_u32_e32 v2, vcc_lo, 0, v3, vcc_lo
	s_lshl_b64 s[0:1], s[22:23], 3
	s_delay_alu instid0(VALU_DEP_2)
	v_add_co_u32 v0, vcc_lo, v0, 0
	v_mov_b32_e32 v3, 0
	s_waitcnt lgkmcnt(0)
	v_add_co_ci_u32_e32 v1, vcc_lo, v2, v1, vcc_lo
	s_add_u32 s0, s20, s0
	s_addc_u32 s1, s21, s1
	global_store_b64 v3, v[0:1], s[0:1]
.LBB47_41:
	s_nop 0
	s_sendmsg sendmsg(MSG_DEALLOC_VGPRS)
	s_endpgm
	.section	.rodata,"a",@progbits
	.p2align	6, 0x0
	.amdhsa_kernel _ZN9rocsparseL25csrgemm_nnz_block_per_rowILj128ELj8ELj512ELj79EllEEvPKT4_S3_PKT3_S3_S6_S3_S6_S3_PS4_21rocsparse_index_base_S8_S8_bb
		.amdhsa_group_segment_fixed_size 0
		.amdhsa_private_segment_fixed_size 0
		.amdhsa_kernarg_size 88
		.amdhsa_user_sgpr_count 15
		.amdhsa_user_sgpr_dispatch_ptr 0
		.amdhsa_user_sgpr_queue_ptr 0
		.amdhsa_user_sgpr_kernarg_segment_ptr 1
		.amdhsa_user_sgpr_dispatch_id 0
		.amdhsa_user_sgpr_private_segment_size 0
		.amdhsa_wavefront_size32 1
		.amdhsa_uses_dynamic_stack 0
		.amdhsa_enable_private_segment 0
		.amdhsa_system_sgpr_workgroup_id_x 1
		.amdhsa_system_sgpr_workgroup_id_y 0
		.amdhsa_system_sgpr_workgroup_id_z 0
		.amdhsa_system_sgpr_workgroup_info 0
		.amdhsa_system_vgpr_workitem_id 0
		.amdhsa_next_free_vgpr 20
		.amdhsa_next_free_sgpr 36
		.amdhsa_reserve_vcc 1
		.amdhsa_float_round_mode_32 0
		.amdhsa_float_round_mode_16_64 0
		.amdhsa_float_denorm_mode_32 3
		.amdhsa_float_denorm_mode_16_64 3
		.amdhsa_dx10_clamp 1
		.amdhsa_ieee_mode 1
		.amdhsa_fp16_overflow 0
		.amdhsa_workgroup_processor_mode 1
		.amdhsa_memory_ordered 1
		.amdhsa_forward_progress 0
		.amdhsa_shared_vgpr_count 0
		.amdhsa_exception_fp_ieee_invalid_op 0
		.amdhsa_exception_fp_denorm_src 0
		.amdhsa_exception_fp_ieee_div_zero 0
		.amdhsa_exception_fp_ieee_overflow 0
		.amdhsa_exception_fp_ieee_underflow 0
		.amdhsa_exception_fp_ieee_inexact 0
		.amdhsa_exception_int_div_zero 0
	.end_amdhsa_kernel
	.section	.text._ZN9rocsparseL25csrgemm_nnz_block_per_rowILj128ELj8ELj512ELj79EllEEvPKT4_S3_PKT3_S3_S6_S3_S6_S3_PS4_21rocsparse_index_base_S8_S8_bb,"axG",@progbits,_ZN9rocsparseL25csrgemm_nnz_block_per_rowILj128ELj8ELj512ELj79EllEEvPKT4_S3_PKT3_S3_S6_S3_S6_S3_PS4_21rocsparse_index_base_S8_S8_bb,comdat
.Lfunc_end47:
	.size	_ZN9rocsparseL25csrgemm_nnz_block_per_rowILj128ELj8ELj512ELj79EllEEvPKT4_S3_PKT3_S3_S6_S3_S6_S3_PS4_21rocsparse_index_base_S8_S8_bb, .Lfunc_end47-_ZN9rocsparseL25csrgemm_nnz_block_per_rowILj128ELj8ELj512ELj79EllEEvPKT4_S3_PKT3_S3_S6_S3_S6_S3_PS4_21rocsparse_index_base_S8_S8_bb
                                        ; -- End function
	.section	.AMDGPU.csdata,"",@progbits
; Kernel info:
; codeLenInByte = 2048
; NumSgprs: 38
; NumVgprs: 20
; ScratchSize: 0
; MemoryBound: 0
; FloatMode: 240
; IeeeMode: 1
; LDSByteSize: 0 bytes/workgroup (compile time only)
; SGPRBlocks: 4
; VGPRBlocks: 2
; NumSGPRsForWavesPerEU: 38
; NumVGPRsForWavesPerEU: 20
; Occupancy: 16
; WaveLimiterHint : 1
; COMPUTE_PGM_RSRC2:SCRATCH_EN: 0
; COMPUTE_PGM_RSRC2:USER_SGPR: 15
; COMPUTE_PGM_RSRC2:TRAP_HANDLER: 0
; COMPUTE_PGM_RSRC2:TGID_X_EN: 1
; COMPUTE_PGM_RSRC2:TGID_Y_EN: 0
; COMPUTE_PGM_RSRC2:TGID_Z_EN: 0
; COMPUTE_PGM_RSRC2:TIDIG_COMP_CNT: 0
	.section	.text._ZN9rocsparseL25csrgemm_nnz_block_per_rowILj128ELj8ELj1024ELj79EllEEvPKT4_S3_PKT3_S3_S6_S3_S6_S3_PS4_21rocsparse_index_base_S8_S8_bb,"axG",@progbits,_ZN9rocsparseL25csrgemm_nnz_block_per_rowILj128ELj8ELj1024ELj79EllEEvPKT4_S3_PKT3_S3_S6_S3_S6_S3_PS4_21rocsparse_index_base_S8_S8_bb,comdat
	.globl	_ZN9rocsparseL25csrgemm_nnz_block_per_rowILj128ELj8ELj1024ELj79EllEEvPKT4_S3_PKT3_S3_S6_S3_S6_S3_PS4_21rocsparse_index_base_S8_S8_bb ; -- Begin function _ZN9rocsparseL25csrgemm_nnz_block_per_rowILj128ELj8ELj1024ELj79EllEEvPKT4_S3_PKT3_S3_S6_S3_S6_S3_PS4_21rocsparse_index_base_S8_S8_bb
	.p2align	8
	.type	_ZN9rocsparseL25csrgemm_nnz_block_per_rowILj128ELj8ELj1024ELj79EllEEvPKT4_S3_PKT3_S3_S6_S3_S6_S3_PS4_21rocsparse_index_base_S8_S8_bb,@function
_ZN9rocsparseL25csrgemm_nnz_block_per_rowILj128ELj8ELj1024ELj79EllEEvPKT4_S3_PKT3_S3_S6_S3_S6_S3_PS4_21rocsparse_index_base_S8_S8_bb: ; @_ZN9rocsparseL25csrgemm_nnz_block_per_rowILj128ELj8ELj1024ELj79EllEEvPKT4_S3_PKT3_S3_S6_S3_S6_S3_PS4_21rocsparse_index_base_S8_S8_bb
; %bb.0:
	s_load_b128 s[4:7], s[0:1], 0x0
	s_mov_b32 s2, s15
	s_mov_b32 s3, 0
	v_mov_b32_e32 v1, -1
	v_lshl_add_u32 v13, v0, 3, 0
	s_delay_alu instid0(VALU_DEP_2)
	v_mov_b32_e32 v2, v1
	ds_store_b64 v13, v[1:2]
	s_waitcnt lgkmcnt(0)
	s_load_b64 s[4:5], s[4:5], 0x0
	s_waitcnt lgkmcnt(0)
	s_lshl_b64 s[4:5], s[4:5], 3
	s_delay_alu instid0(SALU_CYCLE_1) | instskip(SKIP_2) | instid1(SALU_CYCLE_1)
	s_add_u32 s4, s6, s4
	s_addc_u32 s5, s7, s5
	s_lshl_b64 s[2:3], s[2:3], 3
	s_add_u32 s2, s4, s2
	s_addc_u32 s3, s5, s3
	s_load_b64 s[12:13], s[2:3], 0x0
	s_mov_b32 s2, exec_lo
	v_cmpx_gt_u32_e32 0x380, v0
	s_cbranch_execz .LBB48_8
; %bb.1:
	ds_store_b64 v13, v[1:2] offset:1024
	s_mov_b32 s3, exec_lo
	v_cmpx_gt_u32_e32 0x300, v0
	s_xor_b32 s3, exec_lo, s3
	s_cbranch_execz .LBB48_8
; %bb.2:
	v_mov_b32_e32 v1, -1
	s_mov_b32 s3, exec_lo
	s_delay_alu instid0(VALU_DEP_1)
	v_mov_b32_e32 v2, v1
	ds_store_b64 v13, v[1:2] offset:2048
	v_cmpx_gt_u32_e32 0x280, v0
	s_xor_b32 s3, exec_lo, s3
	s_cbranch_execz .LBB48_8
; %bb.3:
	ds_store_b64 v13, v[1:2] offset:3072
	s_mov_b32 s3, exec_lo
	v_cmpx_gt_u32_e32 0x200, v0
	s_xor_b32 s3, exec_lo, s3
	s_cbranch_execz .LBB48_8
; %bb.4:
	v_mov_b32_e32 v1, -1
	s_mov_b32 s3, exec_lo
	s_delay_alu instid0(VALU_DEP_1)
	v_mov_b32_e32 v2, v1
	ds_store_b64 v13, v[1:2] offset:4096
	v_cmpx_gt_u32_e32 0x180, v0
	s_xor_b32 s3, exec_lo, s3
	;; [unrolled: 15-line block ×3, first 2 shown]
	s_cbranch_execz .LBB48_8
; %bb.7:
	ds_store_b64 v13, v[1:2] offset:7168
.LBB48_8:
	s_or_b32 exec_lo, exec_lo, s2
	s_load_b128 s[4:7], s[0:1], 0x48
	v_mov_b32_e32 v1, 0
	v_dual_mov_b32 v2, 0 :: v_dual_and_b32 v15, 7, v0
	v_lshrrev_b32_e32 v14, 3, v0
	s_waitcnt lgkmcnt(0)
	s_barrier
	buffer_gl0_inv
	s_bitcmp1_b32 s7, 0
	s_cselect_b32 s2, -1, 0
	s_delay_alu instid0(SALU_CYCLE_1)
	s_and_b32 vcc_lo, exec_lo, s2
	s_cbranch_vccz .LBB48_26
; %bb.9:
	s_load_b64 s[2:3], s[0:1], 0x10
	s_lshl_b64 s[8:9], s[12:13], 3
	s_mov_b32 s7, 0
	s_waitcnt lgkmcnt(0)
	s_add_u32 s2, s2, s8
	s_addc_u32 s3, s3, s9
	s_load_b128 s[8:11], s[2:3], 0x0
	v_sub_co_u32 v1, s2, v14, s4
	s_delay_alu instid0(VALU_DEP_1) | instskip(SKIP_2) | instid1(VALU_DEP_2)
	v_sub_co_ci_u32_e64 v2, null, 0, 0, s2
	s_mov_b32 s3, exec_lo
	s_waitcnt lgkmcnt(0)
	v_add_co_u32 v3, vcc_lo, v1, s8
	s_delay_alu instid0(VALU_DEP_2) | instskip(SKIP_4) | instid1(SALU_CYCLE_1)
	v_add_co_ci_u32_e32 v4, vcc_lo, s9, v2, vcc_lo
	v_mov_b32_e32 v1, 0
	v_mov_b32_e32 v2, 0
	s_sub_u32 s14, s10, s4
	s_subb_u32 s15, s11, 0
	v_cmpx_gt_i64_e64 s[14:15], v[3:4]
	s_cbranch_execz .LBB48_25
; %bb.10:
	s_clause 0x1
	s_load_b128 s[8:11], s[0:1], 0x18
	s_load_b64 s[16:17], s[0:1], 0x28
	v_sub_co_u32 v16, s2, v15, s5
	v_mov_b32_e32 v1, 0
	v_mov_b32_e32 v2, 0
	v_sub_co_ci_u32_e64 v17, null, 0, 0, s2
	s_branch .LBB48_13
.LBB48_11:                              ;   in Loop: Header=BB48_13 Depth=1
	s_or_b32 exec_lo, exec_lo, s19
.LBB48_12:                              ;   in Loop: Header=BB48_13 Depth=1
	s_delay_alu instid0(SALU_CYCLE_1) | instskip(SKIP_2) | instid1(VALU_DEP_1)
	s_or_b32 exec_lo, exec_lo, s18
	v_add_co_u32 v3, vcc_lo, v3, 16
	v_add_co_ci_u32_e32 v4, vcc_lo, 0, v4, vcc_lo
	v_cmp_le_i64_e32 vcc_lo, s[14:15], v[3:4]
	s_or_b32 s7, vcc_lo, s7
	s_delay_alu instid0(SALU_CYCLE_1)
	s_and_not1_b32 exec_lo, exec_lo, s7
	s_cbranch_execz .LBB48_24
.LBB48_13:                              ; =>This Loop Header: Depth=1
                                        ;     Child Loop BB48_16 Depth 2
                                        ;       Child Loop BB48_19 Depth 3
	v_lshlrev_b64 v[5:6], 3, v[3:4]
	s_mov_b32 s18, exec_lo
	s_waitcnt lgkmcnt(0)
	s_delay_alu instid0(VALU_DEP_1) | instskip(NEXT) | instid1(VALU_DEP_2)
	v_add_co_u32 v5, vcc_lo, s8, v5
	v_add_co_ci_u32_e32 v6, vcc_lo, s9, v6, vcc_lo
	global_load_b64 v[5:6], v[5:6], off
	s_waitcnt vmcnt(0)
	v_sub_co_u32 v5, vcc_lo, v5, s4
	v_subrev_co_ci_u32_e32 v6, vcc_lo, 0, v6, vcc_lo
	s_delay_alu instid0(VALU_DEP_1) | instskip(NEXT) | instid1(VALU_DEP_1)
	v_lshlrev_b64 v[5:6], 3, v[5:6]
	v_add_co_u32 v5, vcc_lo, s10, v5
	s_delay_alu instid0(VALU_DEP_2)
	v_add_co_ci_u32_e32 v6, vcc_lo, s11, v6, vcc_lo
	global_load_b128 v[7:10], v[5:6], off
	s_waitcnt vmcnt(0)
	v_sub_co_u32 v5, vcc_lo, v9, s5
	v_subrev_co_ci_u32_e32 v6, vcc_lo, 0, v10, vcc_lo
	v_add_co_u32 v7, vcc_lo, v16, v7
	v_add_co_ci_u32_e32 v8, vcc_lo, v17, v8, vcc_lo
	s_delay_alu instid0(VALU_DEP_1)
	v_cmpx_lt_i64_e64 v[7:8], v[5:6]
	s_cbranch_execz .LBB48_12
; %bb.14:                               ;   in Loop: Header=BB48_13 Depth=1
	s_mov_b32 s19, 0
	s_branch .LBB48_16
.LBB48_15:                              ;   in Loop: Header=BB48_16 Depth=2
	s_or_b32 exec_lo, exec_lo, s21
	v_add_co_u32 v7, vcc_lo, v7, 8
	v_add_co_ci_u32_e32 v8, vcc_lo, 0, v8, vcc_lo
	v_cndmask_b32_e64 v9, 0, 1, s20
	s_delay_alu instid0(VALU_DEP_2) | instskip(NEXT) | instid1(VALU_DEP_2)
	v_cmp_ge_i64_e32 vcc_lo, v[7:8], v[5:6]
	v_add_co_u32 v1, s2, v1, v9
	s_delay_alu instid0(VALU_DEP_1) | instskip(SKIP_1) | instid1(SALU_CYCLE_1)
	v_add_co_ci_u32_e64 v2, s2, 0, v2, s2
	s_or_b32 s19, vcc_lo, s19
	s_and_not1_b32 exec_lo, exec_lo, s19
	s_cbranch_execz .LBB48_11
.LBB48_16:                              ;   Parent Loop BB48_13 Depth=1
                                        ; =>  This Loop Header: Depth=2
                                        ;       Child Loop BB48_19 Depth 3
	v_lshlrev_b64 v[9:10], 3, v[7:8]
	s_mov_b32 s21, 0
                                        ; implicit-def: $sgpr20
                                        ; implicit-def: $sgpr22
                                        ; implicit-def: $sgpr23
                                        ; implicit-def: $sgpr24
	s_delay_alu instid0(VALU_DEP_1) | instskip(NEXT) | instid1(VALU_DEP_2)
	v_add_co_u32 v9, vcc_lo, s16, v9
	v_add_co_ci_u32_e32 v10, vcc_lo, s17, v10, vcc_lo
	global_load_b64 v[9:10], v[9:10], off
	s_waitcnt vmcnt(0)
	v_sub_co_u32 v9, vcc_lo, v9, s5
	v_subrev_co_ci_u32_e32 v10, vcc_lo, 0, v10, vcc_lo
	s_delay_alu instid0(VALU_DEP_2) | instskip(NEXT) | instid1(VALU_DEP_1)
	v_mul_lo_u32 v11, 0x4f, v9
	v_and_b32_e32 v18, 0x3ff, v11
	s_branch .LBB48_19
.LBB48_17:                              ;   in Loop: Header=BB48_19 Depth=3
	s_or_b32 exec_lo, exec_lo, s28
	s_delay_alu instid0(SALU_CYCLE_1)
	s_and_not1_b32 s2, s23, exec_lo
	s_and_b32 s23, s27, exec_lo
	s_and_not1_b32 s22, s22, exec_lo
	s_and_b32 s24, s26, exec_lo
	s_or_b32 s23, s2, s23
	s_or_b32 s22, s22, s24
                                        ; implicit-def: $sgpr24
.LBB48_18:                              ;   in Loop: Header=BB48_19 Depth=3
	s_or_b32 exec_lo, exec_lo, s25
	s_xor_b32 s2, s22, -1
	s_delay_alu instid0(SALU_CYCLE_1) | instskip(NEXT) | instid1(SALU_CYCLE_1)
	s_and_b32 s2, exec_lo, s2
	s_or_b32 s21, s2, s21
	s_and_not1_b32 s2, s24, exec_lo
	s_and_b32 s25, s23, exec_lo
	s_and_not1_b32 s20, s20, exec_lo
	s_or_b32 s24, s2, s25
	s_or_b32 s20, s20, s25
	s_and_not1_b32 exec_lo, exec_lo, s21
	s_cbranch_execz .LBB48_15
.LBB48_19:                              ;   Parent Loop BB48_13 Depth=1
                                        ;     Parent Loop BB48_16 Depth=2
                                        ; =>    This Inner Loop Header: Depth=3
	s_delay_alu instid0(VALU_DEP_1)
	v_lshl_add_u32 v19, v18, 3, 0
	s_and_not1_b32 s23, s23, exec_lo
	s_and_not1_b32 s22, s22, exec_lo
	s_mov_b32 s25, exec_lo
	ds_load_b64 v[11:12], v19
	s_waitcnt lgkmcnt(0)
	v_cmpx_ne_u64_e64 v[11:12], v[9:10]
	s_cbranch_execz .LBB48_18
; %bb.20:                               ;   in Loop: Header=BB48_19 Depth=3
	s_mov_b32 s2, exec_lo
                                        ; implicit-def: $sgpr27
                                        ; implicit-def: $sgpr26
	v_cmpx_ne_u64_e32 -1, v[11:12]
	s_xor_b32 s2, exec_lo, s2
; %bb.21:                               ;   in Loop: Header=BB48_19 Depth=3
	v_add_nc_u32_e32 v11, 1, v18
	s_mov_b32 s26, -1
	s_and_b32 s27, s24, exec_lo
                                        ; implicit-def: $vgpr19
	s_delay_alu instid0(VALU_DEP_1)
	v_and_b32_e32 v18, 0x3ff, v11
; %bb.22:                               ;   in Loop: Header=BB48_19 Depth=3
	s_and_not1_saveexec_b32 s28, s2
	s_cbranch_execz .LBB48_17
; %bb.23:                               ;   in Loop: Header=BB48_19 Depth=3
	v_mov_b32_e32 v11, -1
	v_mov_b32_e32 v12, -1
	s_and_not1_b32 s26, s26, exec_lo
	s_and_not1_b32 s27, s27, exec_lo
	ds_cmpstore_rtn_b64 v[11:12], v19, v[9:10], v[11:12]
	s_waitcnt lgkmcnt(0)
	v_cmp_eq_u64_e32 vcc_lo, -1, v[11:12]
	v_cmp_ne_u64_e64 s2, -1, v[11:12]
	s_or_b32 s24, vcc_lo, s24
	s_delay_alu instid0(VALU_DEP_1)
	s_and_b32 s2, s2, exec_lo
	s_and_b32 s24, s24, exec_lo
	s_or_b32 s26, s26, s2
	s_or_b32 s27, s27, s24
	s_branch .LBB48_17
.LBB48_24:
	s_or_b32 exec_lo, exec_lo, s7
.LBB48_25:
	s_delay_alu instid0(SALU_CYCLE_1)
	s_or_b32 exec_lo, exec_lo, s3
.LBB48_26:
	s_load_b32 s2, s[0:1], 0x54
	s_waitcnt lgkmcnt(0)
	s_bfe_u32 s2, s2, 0x10008
	s_delay_alu instid0(SALU_CYCLE_1)
	s_cmp_eq_u32 s2, 0
	s_cbranch_scc1 .LBB48_40
; %bb.27:
	s_load_b64 s[2:3], s[0:1], 0x30
	s_lshl_b64 s[4:5], s[12:13], 3
	s_waitcnt lgkmcnt(0)
	s_add_u32 s2, s2, s4
	s_addc_u32 s3, s3, s5
	s_load_b128 s[8:11], s[2:3], 0x0
	v_sub_co_u32 v3, s2, v14, s6
	s_delay_alu instid0(VALU_DEP_1) | instskip(SKIP_2) | instid1(VALU_DEP_2)
	v_sub_co_ci_u32_e64 v4, null, 0, 0, s2
	s_mov_b32 s3, exec_lo
	s_waitcnt lgkmcnt(0)
	v_add_co_u32 v3, vcc_lo, v3, s8
	s_delay_alu instid0(VALU_DEP_2)
	v_add_co_ci_u32_e32 v4, vcc_lo, s9, v4, vcc_lo
	s_sub_u32 s4, s10, s6
	s_subb_u32 s5, s11, 0
	s_delay_alu instid0(VALU_DEP_1) | instid1(SALU_CYCLE_1)
	v_cmpx_gt_i64_e64 s[4:5], v[3:4]
	s_cbranch_execz .LBB48_39
; %bb.28:
	s_load_b64 s[8:9], s[0:1], 0x38
	s_mov_b32 s7, 0
	s_branch .LBB48_30
.LBB48_29:                              ;   in Loop: Header=BB48_30 Depth=1
	s_or_b32 exec_lo, exec_lo, s11
	v_add_co_u32 v3, vcc_lo, v3, 16
	v_add_co_ci_u32_e32 v4, vcc_lo, 0, v4, vcc_lo
	v_cndmask_b32_e64 v5, 0, 1, s10
	s_delay_alu instid0(VALU_DEP_2) | instskip(NEXT) | instid1(VALU_DEP_2)
	v_cmp_le_i64_e32 vcc_lo, s[4:5], v[3:4]
	v_add_co_u32 v1, s2, v1, v5
	s_delay_alu instid0(VALU_DEP_1) | instskip(SKIP_1) | instid1(SALU_CYCLE_1)
	v_add_co_ci_u32_e64 v2, s2, 0, v2, s2
	s_or_b32 s7, vcc_lo, s7
	s_and_not1_b32 exec_lo, exec_lo, s7
	s_cbranch_execz .LBB48_38
.LBB48_30:                              ; =>This Loop Header: Depth=1
                                        ;     Child Loop BB48_33 Depth 2
	v_lshlrev_b64 v[5:6], 3, v[3:4]
	s_mov_b32 s11, 0
                                        ; implicit-def: $sgpr10
                                        ; implicit-def: $sgpr14
                                        ; implicit-def: $sgpr15
                                        ; implicit-def: $sgpr16
	s_waitcnt lgkmcnt(0)
	s_delay_alu instid0(VALU_DEP_1) | instskip(NEXT) | instid1(VALU_DEP_2)
	v_add_co_u32 v5, vcc_lo, s8, v5
	v_add_co_ci_u32_e32 v6, vcc_lo, s9, v6, vcc_lo
	global_load_b64 v[5:6], v[5:6], off
	s_waitcnt vmcnt(0)
	v_sub_co_u32 v5, vcc_lo, v5, s6
	v_subrev_co_ci_u32_e32 v6, vcc_lo, 0, v6, vcc_lo
	s_delay_alu instid0(VALU_DEP_2) | instskip(NEXT) | instid1(VALU_DEP_1)
	v_mul_lo_u32 v7, 0x4f, v5
	v_and_b32_e32 v9, 0x3ff, v7
	s_branch .LBB48_33
.LBB48_31:                              ;   in Loop: Header=BB48_33 Depth=2
	s_or_b32 exec_lo, exec_lo, s20
	s_delay_alu instid0(SALU_CYCLE_1)
	s_and_not1_b32 s2, s15, exec_lo
	s_and_b32 s15, s19, exec_lo
	s_and_not1_b32 s14, s14, exec_lo
	s_and_b32 s16, s18, exec_lo
	s_or_b32 s15, s2, s15
	s_or_b32 s14, s14, s16
                                        ; implicit-def: $sgpr16
.LBB48_32:                              ;   in Loop: Header=BB48_33 Depth=2
	s_or_b32 exec_lo, exec_lo, s17
	s_xor_b32 s2, s14, -1
	s_delay_alu instid0(SALU_CYCLE_1) | instskip(NEXT) | instid1(SALU_CYCLE_1)
	s_and_b32 s2, exec_lo, s2
	s_or_b32 s11, s2, s11
	s_and_not1_b32 s2, s16, exec_lo
	s_and_b32 s17, s15, exec_lo
	s_and_not1_b32 s10, s10, exec_lo
	s_or_b32 s16, s2, s17
	s_or_b32 s10, s10, s17
	s_and_not1_b32 exec_lo, exec_lo, s11
	s_cbranch_execz .LBB48_29
.LBB48_33:                              ;   Parent Loop BB48_30 Depth=1
                                        ; =>  This Inner Loop Header: Depth=2
	s_delay_alu instid0(VALU_DEP_1)
	v_lshl_add_u32 v10, v9, 3, 0
	s_and_not1_b32 s15, s15, exec_lo
	s_and_not1_b32 s14, s14, exec_lo
	s_mov_b32 s17, exec_lo
	ds_load_b64 v[7:8], v10
	s_waitcnt lgkmcnt(0)
	v_cmpx_ne_u64_e64 v[7:8], v[5:6]
	s_cbranch_execz .LBB48_32
; %bb.34:                               ;   in Loop: Header=BB48_33 Depth=2
	s_mov_b32 s2, exec_lo
                                        ; implicit-def: $sgpr19
                                        ; implicit-def: $sgpr18
	v_cmpx_ne_u64_e32 -1, v[7:8]
	s_xor_b32 s2, exec_lo, s2
; %bb.35:                               ;   in Loop: Header=BB48_33 Depth=2
	v_add_nc_u32_e32 v7, 1, v9
	s_mov_b32 s18, -1
	s_and_b32 s19, s16, exec_lo
                                        ; implicit-def: $vgpr10
	s_delay_alu instid0(VALU_DEP_1)
	v_and_b32_e32 v9, 0x3ff, v7
; %bb.36:                               ;   in Loop: Header=BB48_33 Depth=2
	s_and_not1_saveexec_b32 s20, s2
	s_cbranch_execz .LBB48_31
; %bb.37:                               ;   in Loop: Header=BB48_33 Depth=2
	v_mov_b32_e32 v7, -1
	v_mov_b32_e32 v8, -1
	s_and_not1_b32 s18, s18, exec_lo
	s_and_not1_b32 s19, s19, exec_lo
	ds_cmpstore_rtn_b64 v[7:8], v10, v[5:6], v[7:8]
	s_waitcnt lgkmcnt(0)
	v_cmp_eq_u64_e32 vcc_lo, -1, v[7:8]
	v_cmp_ne_u64_e64 s2, -1, v[7:8]
	s_or_b32 s16, vcc_lo, s16
	s_delay_alu instid0(VALU_DEP_1)
	s_and_b32 s2, s2, exec_lo
	s_and_b32 s16, s16, exec_lo
	s_or_b32 s18, s18, s2
	s_or_b32 s19, s19, s16
	s_branch .LBB48_31
.LBB48_38:
	s_or_b32 exec_lo, exec_lo, s7
.LBB48_39:
	s_delay_alu instid0(SALU_CYCLE_1)
	s_or_b32 exec_lo, exec_lo, s3
.LBB48_40:
	v_mbcnt_lo_u32_b32 v5, -1, 0
	s_mov_b32 s2, exec_lo
	s_barrier
	buffer_gl0_inv
	v_xor_b32_e32 v3, 4, v5
	v_xor_b32_e32 v4, 2, v5
	;; [unrolled: 1-line block ×3, first 2 shown]
	s_delay_alu instid0(VALU_DEP_3) | instskip(SKIP_1) | instid1(VALU_DEP_4)
	v_cmp_gt_i32_e32 vcc_lo, 32, v3
	v_cndmask_b32_e32 v3, v5, v3, vcc_lo
	v_cmp_gt_i32_e32 vcc_lo, 32, v4
	v_cndmask_b32_e32 v4, v5, v4, vcc_lo
	s_delay_alu instid0(VALU_DEP_1) | instskip(NEXT) | instid1(VALU_DEP_4)
	v_lshlrev_b32_e32 v4, 2, v4
	v_lshlrev_b32_e32 v3, 2, v3
	ds_bpermute_b32 v6, v3, v1
	ds_bpermute_b32 v7, v3, v2
	s_waitcnt lgkmcnt(1)
	v_add_co_u32 v1, vcc_lo, v1, v6
	v_add_co_ci_u32_e32 v2, vcc_lo, 0, v2, vcc_lo
	ds_bpermute_b32 v6, v4, v1
	v_add_co_u32 v1, vcc_lo, 0, v1
	s_waitcnt lgkmcnt(1)
	v_add_co_ci_u32_e32 v2, vcc_lo, v7, v2, vcc_lo
	v_cmp_gt_i32_e32 vcc_lo, 32, v8
	ds_bpermute_b32 v7, v4, v2
	v_cndmask_b32_e32 v8, v5, v8, vcc_lo
	s_waitcnt lgkmcnt(1)
	v_add_co_u32 v1, vcc_lo, v1, v6
	v_add_co_ci_u32_e32 v9, vcc_lo, 0, v2, vcc_lo
	s_delay_alu instid0(VALU_DEP_3) | instskip(NEXT) | instid1(VALU_DEP_3)
	v_lshlrev_b32_e32 v6, 2, v8
	v_add_co_u32 v2, vcc_lo, v1, 0
	s_waitcnt lgkmcnt(0)
	s_delay_alu instid0(VALU_DEP_3)
	v_add_co_ci_u32_e32 v7, vcc_lo, v9, v7, vcc_lo
	ds_bpermute_b32 v8, v6, v1
	ds_bpermute_b32 v1, v6, v7
	v_cmpx_eq_u32_e32 7, v15
	s_cbranch_execz .LBB48_42
; %bb.41:
	s_waitcnt lgkmcnt(1)
	v_add_co_u32 v2, vcc_lo, v2, v8
	v_add_co_ci_u32_e32 v8, vcc_lo, 0, v7, vcc_lo
	v_lshl_add_u32 v9, v14, 3, 0
	s_delay_alu instid0(VALU_DEP_3) | instskip(SKIP_1) | instid1(VALU_DEP_3)
	v_add_co_u32 v7, vcc_lo, v2, 0
	s_waitcnt lgkmcnt(0)
	v_add_co_ci_u32_e32 v8, vcc_lo, v8, v1, vcc_lo
	ds_store_b64 v9, v[7:8]
.LBB48_42:
	s_or_b32 exec_lo, exec_lo, s2
	s_waitcnt lgkmcnt(0)
	v_mov_b32_e32 v1, 0
	v_mov_b32_e32 v2, 0
	s_mov_b32 s2, exec_lo
	s_barrier
	buffer_gl0_inv
	v_cmpx_gt_u32_e32 16, v0
	s_cbranch_execz .LBB48_44
; %bb.43:
	ds_load_b64 v[1:2], v13
.LBB48_44:
	s_or_b32 exec_lo, exec_lo, s2
	v_xor_b32_e32 v7, 8, v5
	s_mov_b32 s2, exec_lo
	s_delay_alu instid0(VALU_DEP_1) | instskip(SKIP_1) | instid1(VALU_DEP_1)
	v_cmp_gt_i32_e32 vcc_lo, 32, v7
	v_cndmask_b32_e32 v5, v5, v7, vcc_lo
	v_lshlrev_b32_e32 v5, 2, v5
	s_waitcnt lgkmcnt(0)
	ds_bpermute_b32 v7, v5, v1
	ds_bpermute_b32 v5, v5, v2
	s_waitcnt lgkmcnt(1)
	v_add_co_u32 v1, vcc_lo, v1, v7
	v_add_co_ci_u32_e32 v2, vcc_lo, 0, v2, vcc_lo
	ds_bpermute_b32 v7, v3, v1
	v_add_co_u32 v1, vcc_lo, 0, v1
	s_waitcnt lgkmcnt(1)
	v_add_co_ci_u32_e32 v2, vcc_lo, v5, v2, vcc_lo
	ds_bpermute_b32 v3, v3, v2
	s_waitcnt lgkmcnt(1)
	v_add_co_u32 v1, vcc_lo, v1, v7
	v_add_co_ci_u32_e32 v2, vcc_lo, 0, v2, vcc_lo
	ds_bpermute_b32 v5, v4, v1
	v_add_co_u32 v1, vcc_lo, v1, 0
	s_waitcnt lgkmcnt(1)
	v_add_co_ci_u32_e32 v2, vcc_lo, v2, v3, vcc_lo
	ds_bpermute_b32 v3, v4, v2
	s_waitcnt lgkmcnt(1)
	v_add_co_u32 v1, vcc_lo, v1, v5
	v_add_co_ci_u32_e32 v4, vcc_lo, 0, v2, vcc_lo
	s_delay_alu instid0(VALU_DEP_2) | instskip(SKIP_1) | instid1(VALU_DEP_2)
	v_add_co_u32 v2, vcc_lo, v1, 0
	s_waitcnt lgkmcnt(0)
	v_add_co_ci_u32_e32 v3, vcc_lo, v4, v3, vcc_lo
	ds_bpermute_b32 v4, v6, v1
	ds_bpermute_b32 v1, v6, v3
	v_cmpx_eq_u32_e32 15, v0
	s_cbranch_execz .LBB48_46
; %bb.45:
	s_load_b64 s[0:1], s[0:1], 0x40
	s_waitcnt lgkmcnt(0)
	v_add_co_u32 v0, vcc_lo, v2, v4
	v_add_co_ci_u32_e32 v2, vcc_lo, 0, v3, vcc_lo
	s_lshl_b64 s[2:3], s[12:13], 3
	s_delay_alu instid0(VALU_DEP_2) | instskip(SKIP_1) | instid1(VALU_DEP_3)
	v_add_co_u32 v0, vcc_lo, v0, 0
	v_mov_b32_e32 v3, 0
	v_add_co_ci_u32_e32 v1, vcc_lo, v2, v1, vcc_lo
	s_add_u32 s0, s0, s2
	s_addc_u32 s1, s1, s3
	global_store_b64 v3, v[0:1], s[0:1]
.LBB48_46:
	s_nop 0
	s_sendmsg sendmsg(MSG_DEALLOC_VGPRS)
	s_endpgm
	.section	.rodata,"a",@progbits
	.p2align	6, 0x0
	.amdhsa_kernel _ZN9rocsparseL25csrgemm_nnz_block_per_rowILj128ELj8ELj1024ELj79EllEEvPKT4_S3_PKT3_S3_S6_S3_S6_S3_PS4_21rocsparse_index_base_S8_S8_bb
		.amdhsa_group_segment_fixed_size 0
		.amdhsa_private_segment_fixed_size 0
		.amdhsa_kernarg_size 88
		.amdhsa_user_sgpr_count 15
		.amdhsa_user_sgpr_dispatch_ptr 0
		.amdhsa_user_sgpr_queue_ptr 0
		.amdhsa_user_sgpr_kernarg_segment_ptr 1
		.amdhsa_user_sgpr_dispatch_id 0
		.amdhsa_user_sgpr_private_segment_size 0
		.amdhsa_wavefront_size32 1
		.amdhsa_uses_dynamic_stack 0
		.amdhsa_enable_private_segment 0
		.amdhsa_system_sgpr_workgroup_id_x 1
		.amdhsa_system_sgpr_workgroup_id_y 0
		.amdhsa_system_sgpr_workgroup_id_z 0
		.amdhsa_system_sgpr_workgroup_info 0
		.amdhsa_system_vgpr_workitem_id 0
		.amdhsa_next_free_vgpr 20
		.amdhsa_next_free_sgpr 29
		.amdhsa_reserve_vcc 1
		.amdhsa_float_round_mode_32 0
		.amdhsa_float_round_mode_16_64 0
		.amdhsa_float_denorm_mode_32 3
		.amdhsa_float_denorm_mode_16_64 3
		.amdhsa_dx10_clamp 1
		.amdhsa_ieee_mode 1
		.amdhsa_fp16_overflow 0
		.amdhsa_workgroup_processor_mode 1
		.amdhsa_memory_ordered 1
		.amdhsa_forward_progress 0
		.amdhsa_shared_vgpr_count 0
		.amdhsa_exception_fp_ieee_invalid_op 0
		.amdhsa_exception_fp_denorm_src 0
		.amdhsa_exception_fp_ieee_div_zero 0
		.amdhsa_exception_fp_ieee_overflow 0
		.amdhsa_exception_fp_ieee_underflow 0
		.amdhsa_exception_fp_ieee_inexact 0
		.amdhsa_exception_int_div_zero 0
	.end_amdhsa_kernel
	.section	.text._ZN9rocsparseL25csrgemm_nnz_block_per_rowILj128ELj8ELj1024ELj79EllEEvPKT4_S3_PKT3_S3_S6_S3_S6_S3_PS4_21rocsparse_index_base_S8_S8_bb,"axG",@progbits,_ZN9rocsparseL25csrgemm_nnz_block_per_rowILj128ELj8ELj1024ELj79EllEEvPKT4_S3_PKT3_S3_S6_S3_S6_S3_PS4_21rocsparse_index_base_S8_S8_bb,comdat
.Lfunc_end48:
	.size	_ZN9rocsparseL25csrgemm_nnz_block_per_rowILj128ELj8ELj1024ELj79EllEEvPKT4_S3_PKT3_S3_S6_S3_S6_S3_PS4_21rocsparse_index_base_S8_S8_bb, .Lfunc_end48-_ZN9rocsparseL25csrgemm_nnz_block_per_rowILj128ELj8ELj1024ELj79EllEEvPKT4_S3_PKT3_S3_S6_S3_S6_S3_PS4_21rocsparse_index_base_S8_S8_bb
                                        ; -- End function
	.section	.AMDGPU.csdata,"",@progbits
; Kernel info:
; codeLenInByte = 2264
; NumSgprs: 31
; NumVgprs: 20
; ScratchSize: 0
; MemoryBound: 0
; FloatMode: 240
; IeeeMode: 1
; LDSByteSize: 0 bytes/workgroup (compile time only)
; SGPRBlocks: 3
; VGPRBlocks: 2
; NumSGPRsForWavesPerEU: 31
; NumVGPRsForWavesPerEU: 20
; Occupancy: 16
; WaveLimiterHint : 1
; COMPUTE_PGM_RSRC2:SCRATCH_EN: 0
; COMPUTE_PGM_RSRC2:USER_SGPR: 15
; COMPUTE_PGM_RSRC2:TRAP_HANDLER: 0
; COMPUTE_PGM_RSRC2:TGID_X_EN: 1
; COMPUTE_PGM_RSRC2:TGID_Y_EN: 0
; COMPUTE_PGM_RSRC2:TGID_Z_EN: 0
; COMPUTE_PGM_RSRC2:TIDIG_COMP_CNT: 0
	.section	.text._ZN9rocsparseL25csrgemm_nnz_block_per_rowILj256ELj16ELj2048ELj79EllEEvPKT4_S3_PKT3_S3_S6_S3_S6_S3_PS4_21rocsparse_index_base_S8_S8_bb,"axG",@progbits,_ZN9rocsparseL25csrgemm_nnz_block_per_rowILj256ELj16ELj2048ELj79EllEEvPKT4_S3_PKT3_S3_S6_S3_S6_S3_PS4_21rocsparse_index_base_S8_S8_bb,comdat
	.globl	_ZN9rocsparseL25csrgemm_nnz_block_per_rowILj256ELj16ELj2048ELj79EllEEvPKT4_S3_PKT3_S3_S6_S3_S6_S3_PS4_21rocsparse_index_base_S8_S8_bb ; -- Begin function _ZN9rocsparseL25csrgemm_nnz_block_per_rowILj256ELj16ELj2048ELj79EllEEvPKT4_S3_PKT3_S3_S6_S3_S6_S3_PS4_21rocsparse_index_base_S8_S8_bb
	.p2align	8
	.type	_ZN9rocsparseL25csrgemm_nnz_block_per_rowILj256ELj16ELj2048ELj79EllEEvPKT4_S3_PKT3_S3_S6_S3_S6_S3_PS4_21rocsparse_index_base_S8_S8_bb,@function
_ZN9rocsparseL25csrgemm_nnz_block_per_rowILj256ELj16ELj2048ELj79EllEEvPKT4_S3_PKT3_S3_S6_S3_S6_S3_PS4_21rocsparse_index_base_S8_S8_bb: ; @_ZN9rocsparseL25csrgemm_nnz_block_per_rowILj256ELj16ELj2048ELj79EllEEvPKT4_S3_PKT3_S3_S6_S3_S6_S3_PS4_21rocsparse_index_base_S8_S8_bb
; %bb.0:
	s_load_b128 s[4:7], s[0:1], 0x0
	s_mov_b32 s2, s15
	s_mov_b32 s3, 0
	v_or_b32_e32 v3, 0x400, v0
	v_lshl_add_u32 v13, v0, 3, 0
	s_waitcnt lgkmcnt(0)
	s_load_b64 s[4:5], s[4:5], 0x0
	s_waitcnt lgkmcnt(0)
	s_lshl_b64 s[4:5], s[4:5], 3
	s_delay_alu instid0(SALU_CYCLE_1) | instskip(SKIP_2) | instid1(SALU_CYCLE_1)
	s_add_u32 s4, s6, s4
	s_addc_u32 s5, s7, s5
	s_lshl_b64 s[2:3], s[2:3], 3
	s_add_u32 s2, s4, s2
	s_addc_u32 s3, s5, s3
	s_load_b64 s[12:13], s[2:3], 0x0
	s_mov_b32 s2, -1
	s_delay_alu instid0(SALU_CYCLE_1) | instskip(NEXT) | instid1(SALU_CYCLE_1)
	s_mov_b32 s3, s2
	v_dual_mov_b32 v1, s2 :: v_dual_mov_b32 v2, s3
	s_mov_b32 s2, exec_lo
	ds_store_2addr_stride64_b64 v13, v[1:2], v[1:2] offset1:4
	ds_store_2addr_stride64_b64 v13, v[1:2], v[1:2] offset0:8 offset1:12
	ds_store_b64 v13, v[1:2] offset:8192
	v_cmpx_gt_u32_e32 0x700, v3
	s_cbranch_execz .LBB49_4
; %bb.1:
	v_mov_b32_e32 v1, -1
	s_mov_b32 s3, exec_lo
	s_delay_alu instid0(VALU_DEP_1)
	v_mov_b32_e32 v2, v1
	ds_store_b64 v13, v[1:2] offset:10240
	v_cmpx_gt_u32_e32 0x200, v0
	s_xor_b32 s3, exec_lo, s3
	s_cbranch_execz .LBB49_4
; %bb.2:
	ds_store_b64 v13, v[1:2] offset:12288
	s_mov_b32 s3, exec_lo
	v_cmpx_gt_u32_e32 0x100, v0
	s_xor_b32 s3, exec_lo, s3
	s_cbranch_execz .LBB49_4
; %bb.3:
	v_mov_b32_e32 v1, -1
	s_delay_alu instid0(VALU_DEP_1)
	v_mov_b32_e32 v2, v1
	ds_store_b64 v13, v[1:2] offset:14336
.LBB49_4:
	s_or_b32 exec_lo, exec_lo, s2
	s_load_b128 s[4:7], s[0:1], 0x48
	v_mov_b32_e32 v1, 0
	v_dual_mov_b32 v2, 0 :: v_dual_and_b32 v15, 15, v0
	v_lshrrev_b32_e32 v14, 4, v0
	s_waitcnt lgkmcnt(0)
	s_barrier
	buffer_gl0_inv
	s_bitcmp1_b32 s7, 0
	s_cselect_b32 s2, -1, 0
	s_delay_alu instid0(SALU_CYCLE_1)
	s_and_b32 vcc_lo, exec_lo, s2
	s_cbranch_vccz .LBB49_22
; %bb.5:
	s_load_b64 s[2:3], s[0:1], 0x10
	s_lshl_b64 s[8:9], s[12:13], 3
	s_mov_b32 s7, 0
	s_waitcnt lgkmcnt(0)
	s_add_u32 s2, s2, s8
	s_addc_u32 s3, s3, s9
	s_load_b128 s[8:11], s[2:3], 0x0
	v_sub_co_u32 v1, s2, v14, s4
	s_delay_alu instid0(VALU_DEP_1) | instskip(SKIP_2) | instid1(VALU_DEP_2)
	v_sub_co_ci_u32_e64 v2, null, 0, 0, s2
	s_mov_b32 s3, exec_lo
	s_waitcnt lgkmcnt(0)
	v_add_co_u32 v3, vcc_lo, v1, s8
	s_delay_alu instid0(VALU_DEP_2) | instskip(SKIP_4) | instid1(SALU_CYCLE_1)
	v_add_co_ci_u32_e32 v4, vcc_lo, s9, v2, vcc_lo
	v_mov_b32_e32 v1, 0
	v_mov_b32_e32 v2, 0
	s_sub_u32 s14, s10, s4
	s_subb_u32 s15, s11, 0
	v_cmpx_gt_i64_e64 s[14:15], v[3:4]
	s_cbranch_execz .LBB49_21
; %bb.6:
	s_clause 0x1
	s_load_b128 s[8:11], s[0:1], 0x18
	s_load_b64 s[16:17], s[0:1], 0x28
	v_sub_co_u32 v16, s2, v15, s5
	v_mov_b32_e32 v1, 0
	v_mov_b32_e32 v2, 0
	v_sub_co_ci_u32_e64 v17, null, 0, 0, s2
	s_branch .LBB49_9
.LBB49_7:                               ;   in Loop: Header=BB49_9 Depth=1
	s_or_b32 exec_lo, exec_lo, s19
.LBB49_8:                               ;   in Loop: Header=BB49_9 Depth=1
	s_delay_alu instid0(SALU_CYCLE_1) | instskip(SKIP_2) | instid1(VALU_DEP_1)
	s_or_b32 exec_lo, exec_lo, s18
	v_add_co_u32 v3, vcc_lo, v3, 16
	v_add_co_ci_u32_e32 v4, vcc_lo, 0, v4, vcc_lo
	v_cmp_le_i64_e32 vcc_lo, s[14:15], v[3:4]
	s_or_b32 s7, vcc_lo, s7
	s_delay_alu instid0(SALU_CYCLE_1)
	s_and_not1_b32 exec_lo, exec_lo, s7
	s_cbranch_execz .LBB49_20
.LBB49_9:                               ; =>This Loop Header: Depth=1
                                        ;     Child Loop BB49_12 Depth 2
                                        ;       Child Loop BB49_15 Depth 3
	v_lshlrev_b64 v[5:6], 3, v[3:4]
	s_mov_b32 s18, exec_lo
	s_waitcnt lgkmcnt(0)
	s_delay_alu instid0(VALU_DEP_1) | instskip(NEXT) | instid1(VALU_DEP_2)
	v_add_co_u32 v5, vcc_lo, s8, v5
	v_add_co_ci_u32_e32 v6, vcc_lo, s9, v6, vcc_lo
	global_load_b64 v[5:6], v[5:6], off
	s_waitcnt vmcnt(0)
	v_sub_co_u32 v5, vcc_lo, v5, s4
	v_subrev_co_ci_u32_e32 v6, vcc_lo, 0, v6, vcc_lo
	s_delay_alu instid0(VALU_DEP_1) | instskip(NEXT) | instid1(VALU_DEP_1)
	v_lshlrev_b64 v[5:6], 3, v[5:6]
	v_add_co_u32 v5, vcc_lo, s10, v5
	s_delay_alu instid0(VALU_DEP_2)
	v_add_co_ci_u32_e32 v6, vcc_lo, s11, v6, vcc_lo
	global_load_b128 v[7:10], v[5:6], off
	s_waitcnt vmcnt(0)
	v_sub_co_u32 v5, vcc_lo, v9, s5
	v_subrev_co_ci_u32_e32 v6, vcc_lo, 0, v10, vcc_lo
	v_add_co_u32 v7, vcc_lo, v16, v7
	v_add_co_ci_u32_e32 v8, vcc_lo, v17, v8, vcc_lo
	s_delay_alu instid0(VALU_DEP_1)
	v_cmpx_lt_i64_e64 v[7:8], v[5:6]
	s_cbranch_execz .LBB49_8
; %bb.10:                               ;   in Loop: Header=BB49_9 Depth=1
	s_mov_b32 s19, 0
	s_branch .LBB49_12
.LBB49_11:                              ;   in Loop: Header=BB49_12 Depth=2
	s_or_b32 exec_lo, exec_lo, s21
	v_add_co_u32 v7, vcc_lo, v7, 16
	v_add_co_ci_u32_e32 v8, vcc_lo, 0, v8, vcc_lo
	v_cndmask_b32_e64 v9, 0, 1, s20
	s_delay_alu instid0(VALU_DEP_2) | instskip(NEXT) | instid1(VALU_DEP_2)
	v_cmp_ge_i64_e32 vcc_lo, v[7:8], v[5:6]
	v_add_co_u32 v1, s2, v1, v9
	s_delay_alu instid0(VALU_DEP_1) | instskip(SKIP_1) | instid1(SALU_CYCLE_1)
	v_add_co_ci_u32_e64 v2, s2, 0, v2, s2
	s_or_b32 s19, vcc_lo, s19
	s_and_not1_b32 exec_lo, exec_lo, s19
	s_cbranch_execz .LBB49_7
.LBB49_12:                              ;   Parent Loop BB49_9 Depth=1
                                        ; =>  This Loop Header: Depth=2
                                        ;       Child Loop BB49_15 Depth 3
	v_lshlrev_b64 v[9:10], 3, v[7:8]
	s_mov_b32 s21, 0
                                        ; implicit-def: $sgpr20
                                        ; implicit-def: $sgpr22
                                        ; implicit-def: $sgpr23
                                        ; implicit-def: $sgpr24
	s_delay_alu instid0(VALU_DEP_1) | instskip(NEXT) | instid1(VALU_DEP_2)
	v_add_co_u32 v9, vcc_lo, s16, v9
	v_add_co_ci_u32_e32 v10, vcc_lo, s17, v10, vcc_lo
	global_load_b64 v[9:10], v[9:10], off
	s_waitcnt vmcnt(0)
	v_sub_co_u32 v9, vcc_lo, v9, s5
	v_subrev_co_ci_u32_e32 v10, vcc_lo, 0, v10, vcc_lo
	s_delay_alu instid0(VALU_DEP_2) | instskip(NEXT) | instid1(VALU_DEP_1)
	v_mul_lo_u32 v11, 0x4f, v9
	v_and_b32_e32 v18, 0x7ff, v11
	s_branch .LBB49_15
.LBB49_13:                              ;   in Loop: Header=BB49_15 Depth=3
	s_or_b32 exec_lo, exec_lo, s28
	s_delay_alu instid0(SALU_CYCLE_1)
	s_and_not1_b32 s2, s23, exec_lo
	s_and_b32 s23, s27, exec_lo
	s_and_not1_b32 s22, s22, exec_lo
	s_and_b32 s24, s26, exec_lo
	s_or_b32 s23, s2, s23
	s_or_b32 s22, s22, s24
                                        ; implicit-def: $sgpr24
.LBB49_14:                              ;   in Loop: Header=BB49_15 Depth=3
	s_or_b32 exec_lo, exec_lo, s25
	s_xor_b32 s2, s22, -1
	s_delay_alu instid0(SALU_CYCLE_1) | instskip(NEXT) | instid1(SALU_CYCLE_1)
	s_and_b32 s2, exec_lo, s2
	s_or_b32 s21, s2, s21
	s_and_not1_b32 s2, s24, exec_lo
	s_and_b32 s25, s23, exec_lo
	s_and_not1_b32 s20, s20, exec_lo
	s_or_b32 s24, s2, s25
	s_or_b32 s20, s20, s25
	s_and_not1_b32 exec_lo, exec_lo, s21
	s_cbranch_execz .LBB49_11
.LBB49_15:                              ;   Parent Loop BB49_9 Depth=1
                                        ;     Parent Loop BB49_12 Depth=2
                                        ; =>    This Inner Loop Header: Depth=3
	s_delay_alu instid0(VALU_DEP_1)
	v_lshl_add_u32 v19, v18, 3, 0
	s_and_not1_b32 s23, s23, exec_lo
	s_and_not1_b32 s22, s22, exec_lo
	s_mov_b32 s25, exec_lo
	ds_load_b64 v[11:12], v19
	s_waitcnt lgkmcnt(0)
	v_cmpx_ne_u64_e64 v[11:12], v[9:10]
	s_cbranch_execz .LBB49_14
; %bb.16:                               ;   in Loop: Header=BB49_15 Depth=3
	s_mov_b32 s2, exec_lo
                                        ; implicit-def: $sgpr27
                                        ; implicit-def: $sgpr26
	v_cmpx_ne_u64_e32 -1, v[11:12]
	s_xor_b32 s2, exec_lo, s2
; %bb.17:                               ;   in Loop: Header=BB49_15 Depth=3
	v_add_nc_u32_e32 v11, 1, v18
	s_mov_b32 s26, -1
	s_and_b32 s27, s24, exec_lo
                                        ; implicit-def: $vgpr19
	s_delay_alu instid0(VALU_DEP_1)
	v_and_b32_e32 v18, 0x7ff, v11
; %bb.18:                               ;   in Loop: Header=BB49_15 Depth=3
	s_and_not1_saveexec_b32 s28, s2
	s_cbranch_execz .LBB49_13
; %bb.19:                               ;   in Loop: Header=BB49_15 Depth=3
	v_mov_b32_e32 v11, -1
	v_mov_b32_e32 v12, -1
	s_and_not1_b32 s26, s26, exec_lo
	s_and_not1_b32 s27, s27, exec_lo
	ds_cmpstore_rtn_b64 v[11:12], v19, v[9:10], v[11:12]
	s_waitcnt lgkmcnt(0)
	v_cmp_eq_u64_e32 vcc_lo, -1, v[11:12]
	v_cmp_ne_u64_e64 s2, -1, v[11:12]
	s_or_b32 s24, vcc_lo, s24
	s_delay_alu instid0(VALU_DEP_1)
	s_and_b32 s2, s2, exec_lo
	s_and_b32 s24, s24, exec_lo
	s_or_b32 s26, s26, s2
	s_or_b32 s27, s27, s24
	s_branch .LBB49_13
.LBB49_20:
	s_or_b32 exec_lo, exec_lo, s7
.LBB49_21:
	s_delay_alu instid0(SALU_CYCLE_1)
	s_or_b32 exec_lo, exec_lo, s3
.LBB49_22:
	s_load_b32 s2, s[0:1], 0x54
	s_waitcnt lgkmcnt(0)
	s_bfe_u32 s2, s2, 0x10008
	s_delay_alu instid0(SALU_CYCLE_1)
	s_cmp_eq_u32 s2, 0
	s_cbranch_scc1 .LBB49_36
; %bb.23:
	s_load_b64 s[2:3], s[0:1], 0x30
	s_lshl_b64 s[4:5], s[12:13], 3
	s_waitcnt lgkmcnt(0)
	s_add_u32 s2, s2, s4
	s_addc_u32 s3, s3, s5
	s_load_b128 s[8:11], s[2:3], 0x0
	v_sub_co_u32 v3, s2, v14, s6
	s_delay_alu instid0(VALU_DEP_1) | instskip(SKIP_2) | instid1(VALU_DEP_2)
	v_sub_co_ci_u32_e64 v4, null, 0, 0, s2
	s_mov_b32 s3, exec_lo
	s_waitcnt lgkmcnt(0)
	v_add_co_u32 v3, vcc_lo, v3, s8
	s_delay_alu instid0(VALU_DEP_2)
	v_add_co_ci_u32_e32 v4, vcc_lo, s9, v4, vcc_lo
	s_sub_u32 s4, s10, s6
	s_subb_u32 s5, s11, 0
	s_delay_alu instid0(VALU_DEP_1) | instid1(SALU_CYCLE_1)
	v_cmpx_gt_i64_e64 s[4:5], v[3:4]
	s_cbranch_execz .LBB49_35
; %bb.24:
	s_load_b64 s[8:9], s[0:1], 0x38
	s_mov_b32 s7, 0
	s_branch .LBB49_26
.LBB49_25:                              ;   in Loop: Header=BB49_26 Depth=1
	s_or_b32 exec_lo, exec_lo, s11
	v_add_co_u32 v3, vcc_lo, v3, 16
	v_add_co_ci_u32_e32 v4, vcc_lo, 0, v4, vcc_lo
	v_cndmask_b32_e64 v5, 0, 1, s10
	s_delay_alu instid0(VALU_DEP_2) | instskip(NEXT) | instid1(VALU_DEP_2)
	v_cmp_le_i64_e32 vcc_lo, s[4:5], v[3:4]
	v_add_co_u32 v1, s2, v1, v5
	s_delay_alu instid0(VALU_DEP_1) | instskip(SKIP_1) | instid1(SALU_CYCLE_1)
	v_add_co_ci_u32_e64 v2, s2, 0, v2, s2
	s_or_b32 s7, vcc_lo, s7
	s_and_not1_b32 exec_lo, exec_lo, s7
	s_cbranch_execz .LBB49_34
.LBB49_26:                              ; =>This Loop Header: Depth=1
                                        ;     Child Loop BB49_29 Depth 2
	v_lshlrev_b64 v[5:6], 3, v[3:4]
	s_mov_b32 s11, 0
                                        ; implicit-def: $sgpr10
                                        ; implicit-def: $sgpr14
                                        ; implicit-def: $sgpr15
                                        ; implicit-def: $sgpr16
	s_waitcnt lgkmcnt(0)
	s_delay_alu instid0(VALU_DEP_1) | instskip(NEXT) | instid1(VALU_DEP_2)
	v_add_co_u32 v5, vcc_lo, s8, v5
	v_add_co_ci_u32_e32 v6, vcc_lo, s9, v6, vcc_lo
	global_load_b64 v[5:6], v[5:6], off
	s_waitcnt vmcnt(0)
	v_sub_co_u32 v5, vcc_lo, v5, s6
	v_subrev_co_ci_u32_e32 v6, vcc_lo, 0, v6, vcc_lo
	s_delay_alu instid0(VALU_DEP_2) | instskip(NEXT) | instid1(VALU_DEP_1)
	v_mul_lo_u32 v7, 0x4f, v5
	v_and_b32_e32 v9, 0x7ff, v7
	s_branch .LBB49_29
.LBB49_27:                              ;   in Loop: Header=BB49_29 Depth=2
	s_or_b32 exec_lo, exec_lo, s20
	s_delay_alu instid0(SALU_CYCLE_1)
	s_and_not1_b32 s2, s15, exec_lo
	s_and_b32 s15, s19, exec_lo
	s_and_not1_b32 s14, s14, exec_lo
	s_and_b32 s16, s18, exec_lo
	s_or_b32 s15, s2, s15
	s_or_b32 s14, s14, s16
                                        ; implicit-def: $sgpr16
.LBB49_28:                              ;   in Loop: Header=BB49_29 Depth=2
	s_or_b32 exec_lo, exec_lo, s17
	s_xor_b32 s2, s14, -1
	s_delay_alu instid0(SALU_CYCLE_1) | instskip(NEXT) | instid1(SALU_CYCLE_1)
	s_and_b32 s2, exec_lo, s2
	s_or_b32 s11, s2, s11
	s_and_not1_b32 s2, s16, exec_lo
	s_and_b32 s17, s15, exec_lo
	s_and_not1_b32 s10, s10, exec_lo
	s_or_b32 s16, s2, s17
	s_or_b32 s10, s10, s17
	s_and_not1_b32 exec_lo, exec_lo, s11
	s_cbranch_execz .LBB49_25
.LBB49_29:                              ;   Parent Loop BB49_26 Depth=1
                                        ; =>  This Inner Loop Header: Depth=2
	s_delay_alu instid0(VALU_DEP_1)
	v_lshl_add_u32 v10, v9, 3, 0
	s_and_not1_b32 s15, s15, exec_lo
	s_and_not1_b32 s14, s14, exec_lo
	s_mov_b32 s17, exec_lo
	ds_load_b64 v[7:8], v10
	s_waitcnt lgkmcnt(0)
	v_cmpx_ne_u64_e64 v[7:8], v[5:6]
	s_cbranch_execz .LBB49_28
; %bb.30:                               ;   in Loop: Header=BB49_29 Depth=2
	s_mov_b32 s2, exec_lo
                                        ; implicit-def: $sgpr19
                                        ; implicit-def: $sgpr18
	v_cmpx_ne_u64_e32 -1, v[7:8]
	s_xor_b32 s2, exec_lo, s2
; %bb.31:                               ;   in Loop: Header=BB49_29 Depth=2
	v_add_nc_u32_e32 v7, 1, v9
	s_mov_b32 s18, -1
	s_and_b32 s19, s16, exec_lo
                                        ; implicit-def: $vgpr10
	s_delay_alu instid0(VALU_DEP_1)
	v_and_b32_e32 v9, 0x7ff, v7
; %bb.32:                               ;   in Loop: Header=BB49_29 Depth=2
	s_and_not1_saveexec_b32 s20, s2
	s_cbranch_execz .LBB49_27
; %bb.33:                               ;   in Loop: Header=BB49_29 Depth=2
	v_mov_b32_e32 v7, -1
	v_mov_b32_e32 v8, -1
	s_and_not1_b32 s18, s18, exec_lo
	s_and_not1_b32 s19, s19, exec_lo
	ds_cmpstore_rtn_b64 v[7:8], v10, v[5:6], v[7:8]
	s_waitcnt lgkmcnt(0)
	v_cmp_eq_u64_e32 vcc_lo, -1, v[7:8]
	v_cmp_ne_u64_e64 s2, -1, v[7:8]
	s_or_b32 s16, vcc_lo, s16
	s_delay_alu instid0(VALU_DEP_1)
	s_and_b32 s2, s2, exec_lo
	s_and_b32 s16, s16, exec_lo
	s_or_b32 s18, s18, s2
	s_or_b32 s19, s19, s16
	s_branch .LBB49_27
.LBB49_34:
	s_or_b32 exec_lo, exec_lo, s7
.LBB49_35:
	s_delay_alu instid0(SALU_CYCLE_1)
	s_or_b32 exec_lo, exec_lo, s3
.LBB49_36:
	v_mbcnt_lo_u32_b32 v6, -1, 0
	s_mov_b32 s2, exec_lo
	s_barrier
	buffer_gl0_inv
	v_xor_b32_e32 v3, 8, v6
	v_xor_b32_e32 v4, 4, v6
	;; [unrolled: 1-line block ×3, first 2 shown]
	s_delay_alu instid0(VALU_DEP_3) | instskip(SKIP_1) | instid1(VALU_DEP_4)
	v_cmp_gt_i32_e32 vcc_lo, 32, v3
	v_cndmask_b32_e32 v3, v6, v3, vcc_lo
	v_cmp_gt_i32_e32 vcc_lo, 32, v4
	v_cndmask_b32_e32 v4, v6, v4, vcc_lo
	s_delay_alu instid0(VALU_DEP_1) | instskip(NEXT) | instid1(VALU_DEP_4)
	v_lshlrev_b32_e32 v4, 2, v4
	v_lshlrev_b32_e32 v3, 2, v3
	ds_bpermute_b32 v5, v3, v1
	ds_bpermute_b32 v7, v3, v2
	s_waitcnt lgkmcnt(1)
	v_add_co_u32 v1, vcc_lo, v1, v5
	v_add_co_ci_u32_e32 v2, vcc_lo, 0, v2, vcc_lo
	v_xor_b32_e32 v5, 2, v6
	ds_bpermute_b32 v8, v4, v1
	v_add_co_u32 v1, vcc_lo, 0, v1
	s_waitcnt lgkmcnt(1)
	v_add_co_ci_u32_e32 v2, vcc_lo, v7, v2, vcc_lo
	v_cmp_gt_i32_e32 vcc_lo, 32, v5
	ds_bpermute_b32 v7, v4, v2
	v_cndmask_b32_e32 v5, v6, v5, vcc_lo
	s_delay_alu instid0(VALU_DEP_1)
	v_lshlrev_b32_e32 v5, 2, v5
	s_waitcnt lgkmcnt(1)
	v_add_co_u32 v1, vcc_lo, v1, v8
	v_add_co_ci_u32_e32 v2, vcc_lo, 0, v2, vcc_lo
	ds_bpermute_b32 v8, v5, v1
	v_add_co_u32 v1, vcc_lo, v1, 0
	s_waitcnt lgkmcnt(1)
	v_add_co_ci_u32_e32 v2, vcc_lo, v2, v7, vcc_lo
	v_cmp_gt_i32_e32 vcc_lo, 32, v9
	ds_bpermute_b32 v7, v5, v2
	v_cndmask_b32_e32 v6, v6, v9, vcc_lo
	s_delay_alu instid0(VALU_DEP_1) | instskip(SKIP_3) | instid1(VALU_DEP_2)
	v_lshlrev_b32_e32 v6, 2, v6
	s_waitcnt lgkmcnt(1)
	v_add_co_u32 v1, vcc_lo, v1, v8
	v_add_co_ci_u32_e32 v8, vcc_lo, 0, v2, vcc_lo
	v_add_co_u32 v2, vcc_lo, v1, 0
	s_waitcnt lgkmcnt(0)
	s_delay_alu instid0(VALU_DEP_2)
	v_add_co_ci_u32_e32 v7, vcc_lo, v8, v7, vcc_lo
	ds_bpermute_b32 v8, v6, v1
	ds_bpermute_b32 v1, v6, v7
	v_cmpx_eq_u32_e32 15, v15
	s_cbranch_execz .LBB49_38
; %bb.37:
	s_waitcnt lgkmcnt(1)
	v_add_co_u32 v2, vcc_lo, v2, v8
	v_add_co_ci_u32_e32 v8, vcc_lo, 0, v7, vcc_lo
	v_lshl_add_u32 v9, v14, 3, 0
	s_delay_alu instid0(VALU_DEP_3) | instskip(SKIP_1) | instid1(VALU_DEP_3)
	v_add_co_u32 v7, vcc_lo, v2, 0
	s_waitcnt lgkmcnt(0)
	v_add_co_ci_u32_e32 v8, vcc_lo, v8, v1, vcc_lo
	ds_store_b64 v9, v[7:8]
.LBB49_38:
	s_or_b32 exec_lo, exec_lo, s2
	s_waitcnt lgkmcnt(0)
	v_mov_b32_e32 v1, 0
	v_mov_b32_e32 v2, 0
	s_mov_b32 s2, exec_lo
	s_barrier
	buffer_gl0_inv
	v_cmpx_gt_u32_e32 16, v0
	s_cbranch_execz .LBB49_40
; %bb.39:
	ds_load_b64 v[1:2], v13
.LBB49_40:
	s_or_b32 exec_lo, exec_lo, s2
	s_waitcnt lgkmcnt(0)
	ds_bpermute_b32 v7, v3, v1
	ds_bpermute_b32 v3, v3, v2
	s_mov_b32 s2, exec_lo
	s_waitcnt lgkmcnt(1)
	v_add_co_u32 v1, vcc_lo, v1, v7
	v_add_co_ci_u32_e32 v2, vcc_lo, 0, v2, vcc_lo
	ds_bpermute_b32 v7, v4, v1
	v_add_co_u32 v1, vcc_lo, 0, v1
	s_waitcnt lgkmcnt(1)
	v_add_co_ci_u32_e32 v2, vcc_lo, v3, v2, vcc_lo
	ds_bpermute_b32 v3, v4, v2
	s_waitcnt lgkmcnt(1)
	v_add_co_u32 v1, vcc_lo, v1, v7
	v_add_co_ci_u32_e32 v2, vcc_lo, 0, v2, vcc_lo
	ds_bpermute_b32 v4, v5, v1
	v_add_co_u32 v1, vcc_lo, v1, 0
	s_waitcnt lgkmcnt(1)
	v_add_co_ci_u32_e32 v2, vcc_lo, v2, v3, vcc_lo
	ds_bpermute_b32 v3, v5, v2
	s_waitcnt lgkmcnt(1)
	v_add_co_u32 v1, vcc_lo, v1, v4
	v_add_co_ci_u32_e32 v4, vcc_lo, 0, v2, vcc_lo
	s_delay_alu instid0(VALU_DEP_2) | instskip(SKIP_1) | instid1(VALU_DEP_2)
	v_add_co_u32 v2, vcc_lo, v1, 0
	s_waitcnt lgkmcnt(0)
	v_add_co_ci_u32_e32 v3, vcc_lo, v4, v3, vcc_lo
	ds_bpermute_b32 v4, v6, v1
	ds_bpermute_b32 v1, v6, v3
	v_cmpx_eq_u32_e32 15, v0
	s_cbranch_execz .LBB49_42
; %bb.41:
	s_load_b64 s[0:1], s[0:1], 0x40
	s_waitcnt lgkmcnt(0)
	v_add_co_u32 v0, vcc_lo, v2, v4
	v_add_co_ci_u32_e32 v2, vcc_lo, 0, v3, vcc_lo
	s_lshl_b64 s[2:3], s[12:13], 3
	s_delay_alu instid0(VALU_DEP_2) | instskip(SKIP_1) | instid1(VALU_DEP_3)
	v_add_co_u32 v0, vcc_lo, v0, 0
	v_mov_b32_e32 v3, 0
	v_add_co_ci_u32_e32 v1, vcc_lo, v2, v1, vcc_lo
	s_add_u32 s0, s0, s2
	s_addc_u32 s1, s1, s3
	global_store_b64 v3, v[0:1], s[0:1]
.LBB49_42:
	s_nop 0
	s_sendmsg sendmsg(MSG_DEALLOC_VGPRS)
	s_endpgm
	.section	.rodata,"a",@progbits
	.p2align	6, 0x0
	.amdhsa_kernel _ZN9rocsparseL25csrgemm_nnz_block_per_rowILj256ELj16ELj2048ELj79EllEEvPKT4_S3_PKT3_S3_S6_S3_S6_S3_PS4_21rocsparse_index_base_S8_S8_bb
		.amdhsa_group_segment_fixed_size 0
		.amdhsa_private_segment_fixed_size 0
		.amdhsa_kernarg_size 88
		.amdhsa_user_sgpr_count 15
		.amdhsa_user_sgpr_dispatch_ptr 0
		.amdhsa_user_sgpr_queue_ptr 0
		.amdhsa_user_sgpr_kernarg_segment_ptr 1
		.amdhsa_user_sgpr_dispatch_id 0
		.amdhsa_user_sgpr_private_segment_size 0
		.amdhsa_wavefront_size32 1
		.amdhsa_uses_dynamic_stack 0
		.amdhsa_enable_private_segment 0
		.amdhsa_system_sgpr_workgroup_id_x 1
		.amdhsa_system_sgpr_workgroup_id_y 0
		.amdhsa_system_sgpr_workgroup_id_z 0
		.amdhsa_system_sgpr_workgroup_info 0
		.amdhsa_system_vgpr_workitem_id 0
		.amdhsa_next_free_vgpr 20
		.amdhsa_next_free_sgpr 29
		.amdhsa_reserve_vcc 1
		.amdhsa_float_round_mode_32 0
		.amdhsa_float_round_mode_16_64 0
		.amdhsa_float_denorm_mode_32 3
		.amdhsa_float_denorm_mode_16_64 3
		.amdhsa_dx10_clamp 1
		.amdhsa_ieee_mode 1
		.amdhsa_fp16_overflow 0
		.amdhsa_workgroup_processor_mode 1
		.amdhsa_memory_ordered 1
		.amdhsa_forward_progress 0
		.amdhsa_shared_vgpr_count 0
		.amdhsa_exception_fp_ieee_invalid_op 0
		.amdhsa_exception_fp_denorm_src 0
		.amdhsa_exception_fp_ieee_div_zero 0
		.amdhsa_exception_fp_ieee_overflow 0
		.amdhsa_exception_fp_ieee_underflow 0
		.amdhsa_exception_fp_ieee_inexact 0
		.amdhsa_exception_int_div_zero 0
	.end_amdhsa_kernel
	.section	.text._ZN9rocsparseL25csrgemm_nnz_block_per_rowILj256ELj16ELj2048ELj79EllEEvPKT4_S3_PKT3_S3_S6_S3_S6_S3_PS4_21rocsparse_index_base_S8_S8_bb,"axG",@progbits,_ZN9rocsparseL25csrgemm_nnz_block_per_rowILj256ELj16ELj2048ELj79EllEEvPKT4_S3_PKT3_S3_S6_S3_S6_S3_PS4_21rocsparse_index_base_S8_S8_bb,comdat
.Lfunc_end49:
	.size	_ZN9rocsparseL25csrgemm_nnz_block_per_rowILj256ELj16ELj2048ELj79EllEEvPKT4_S3_PKT3_S3_S6_S3_S6_S3_PS4_21rocsparse_index_base_S8_S8_bb, .Lfunc_end49-_ZN9rocsparseL25csrgemm_nnz_block_per_rowILj256ELj16ELj2048ELj79EllEEvPKT4_S3_PKT3_S3_S6_S3_S6_S3_PS4_21rocsparse_index_base_S8_S8_bb
                                        ; -- End function
	.section	.AMDGPU.csdata,"",@progbits
; Kernel info:
; codeLenInByte = 2220
; NumSgprs: 31
; NumVgprs: 20
; ScratchSize: 0
; MemoryBound: 0
; FloatMode: 240
; IeeeMode: 1
; LDSByteSize: 0 bytes/workgroup (compile time only)
; SGPRBlocks: 3
; VGPRBlocks: 2
; NumSGPRsForWavesPerEU: 31
; NumVGPRsForWavesPerEU: 20
; Occupancy: 16
; WaveLimiterHint : 1
; COMPUTE_PGM_RSRC2:SCRATCH_EN: 0
; COMPUTE_PGM_RSRC2:USER_SGPR: 15
; COMPUTE_PGM_RSRC2:TRAP_HANDLER: 0
; COMPUTE_PGM_RSRC2:TGID_X_EN: 1
; COMPUTE_PGM_RSRC2:TGID_Y_EN: 0
; COMPUTE_PGM_RSRC2:TGID_Z_EN: 0
; COMPUTE_PGM_RSRC2:TIDIG_COMP_CNT: 0
	.section	.text._ZN9rocsparseL25csrgemm_nnz_block_per_rowILj512ELj16ELj4096ELj79EllEEvPKT4_S3_PKT3_S3_S6_S3_S6_S3_PS4_21rocsparse_index_base_S8_S8_bb,"axG",@progbits,_ZN9rocsparseL25csrgemm_nnz_block_per_rowILj512ELj16ELj4096ELj79EllEEvPKT4_S3_PKT3_S3_S6_S3_S6_S3_PS4_21rocsparse_index_base_S8_S8_bb,comdat
	.globl	_ZN9rocsparseL25csrgemm_nnz_block_per_rowILj512ELj16ELj4096ELj79EllEEvPKT4_S3_PKT3_S3_S6_S3_S6_S3_PS4_21rocsparse_index_base_S8_S8_bb ; -- Begin function _ZN9rocsparseL25csrgemm_nnz_block_per_rowILj512ELj16ELj4096ELj79EllEEvPKT4_S3_PKT3_S3_S6_S3_S6_S3_PS4_21rocsparse_index_base_S8_S8_bb
	.p2align	8
	.type	_ZN9rocsparseL25csrgemm_nnz_block_per_rowILj512ELj16ELj4096ELj79EllEEvPKT4_S3_PKT3_S3_S6_S3_S6_S3_PS4_21rocsparse_index_base_S8_S8_bb,@function
_ZN9rocsparseL25csrgemm_nnz_block_per_rowILj512ELj16ELj4096ELj79EllEEvPKT4_S3_PKT3_S3_S6_S3_S6_S3_PS4_21rocsparse_index_base_S8_S8_bb: ; @_ZN9rocsparseL25csrgemm_nnz_block_per_rowILj512ELj16ELj4096ELj79EllEEvPKT4_S3_PKT3_S3_S6_S3_S6_S3_PS4_21rocsparse_index_base_S8_S8_bb
; %bb.0:
	s_load_b128 s[4:7], s[0:1], 0x0
	s_mov_b32 s2, s15
	s_mov_b32 s3, 0
	v_lshl_add_u32 v13, v0, 3, 0
	v_or_b32_e32 v3, 0xc00, v0
	s_waitcnt lgkmcnt(0)
	s_load_b64 s[4:5], s[4:5], 0x0
	s_waitcnt lgkmcnt(0)
	s_lshl_b64 s[4:5], s[4:5], 3
	s_delay_alu instid0(SALU_CYCLE_1) | instskip(SKIP_2) | instid1(SALU_CYCLE_1)
	s_add_u32 s4, s6, s4
	s_addc_u32 s5, s7, s5
	s_lshl_b64 s[2:3], s[2:3], 3
	s_add_u32 s2, s4, s2
	s_addc_u32 s3, s5, s3
	s_load_b64 s[12:13], s[2:3], 0x0
	s_mov_b32 s2, -1
	s_delay_alu instid0(SALU_CYCLE_1) | instskip(NEXT) | instid1(SALU_CYCLE_1)
	s_mov_b32 s3, s2
	v_dual_mov_b32 v1, s2 :: v_dual_mov_b32 v2, s3
	s_mov_b32 s2, exec_lo
	ds_store_2addr_stride64_b64 v13, v[1:2], v[1:2] offset1:8
	ds_store_2addr_stride64_b64 v13, v[1:2], v[1:2] offset0:16 offset1:24
	ds_store_2addr_stride64_b64 v13, v[1:2], v[1:2] offset0:32 offset1:40
	ds_store_b64 v13, v[1:2] offset:24576
	v_cmpx_gt_u32_e32 0xe00, v3
	s_cbranch_execz .LBB50_2
; %bb.1:
	v_mov_b32_e32 v1, -1
	s_delay_alu instid0(VALU_DEP_1)
	v_mov_b32_e32 v2, v1
	ds_store_b64 v13, v[1:2] offset:28672
.LBB50_2:
	s_or_b32 exec_lo, exec_lo, s2
	s_load_b128 s[4:7], s[0:1], 0x48
	v_mov_b32_e32 v1, 0
	v_dual_mov_b32 v2, 0 :: v_dual_and_b32 v15, 15, v0
	v_lshrrev_b32_e32 v14, 4, v0
	s_waitcnt lgkmcnt(0)
	s_barrier
	buffer_gl0_inv
	s_bitcmp1_b32 s7, 0
	s_cselect_b32 s2, -1, 0
	s_delay_alu instid0(SALU_CYCLE_1)
	s_and_b32 vcc_lo, exec_lo, s2
	s_cbranch_vccz .LBB50_20
; %bb.3:
	s_load_b64 s[2:3], s[0:1], 0x10
	s_lshl_b64 s[8:9], s[12:13], 3
	s_mov_b32 s7, 0
	s_waitcnt lgkmcnt(0)
	s_add_u32 s2, s2, s8
	s_addc_u32 s3, s3, s9
	s_load_b128 s[8:11], s[2:3], 0x0
	v_sub_co_u32 v1, s2, v14, s4
	s_delay_alu instid0(VALU_DEP_1) | instskip(SKIP_2) | instid1(VALU_DEP_2)
	v_sub_co_ci_u32_e64 v2, null, 0, 0, s2
	s_mov_b32 s3, exec_lo
	s_waitcnt lgkmcnt(0)
	v_add_co_u32 v3, vcc_lo, v1, s8
	s_delay_alu instid0(VALU_DEP_2) | instskip(SKIP_4) | instid1(SALU_CYCLE_1)
	v_add_co_ci_u32_e32 v4, vcc_lo, s9, v2, vcc_lo
	v_mov_b32_e32 v1, 0
	v_mov_b32_e32 v2, 0
	s_sub_u32 s14, s10, s4
	s_subb_u32 s15, s11, 0
	v_cmpx_gt_i64_e64 s[14:15], v[3:4]
	s_cbranch_execz .LBB50_19
; %bb.4:
	s_clause 0x1
	s_load_b128 s[8:11], s[0:1], 0x18
	s_load_b64 s[16:17], s[0:1], 0x28
	v_sub_co_u32 v16, s2, v15, s5
	v_mov_b32_e32 v1, 0
	v_mov_b32_e32 v2, 0
	v_sub_co_ci_u32_e64 v17, null, 0, 0, s2
	s_branch .LBB50_7
.LBB50_5:                               ;   in Loop: Header=BB50_7 Depth=1
	s_or_b32 exec_lo, exec_lo, s19
.LBB50_6:                               ;   in Loop: Header=BB50_7 Depth=1
	s_delay_alu instid0(SALU_CYCLE_1) | instskip(SKIP_2) | instid1(VALU_DEP_1)
	s_or_b32 exec_lo, exec_lo, s18
	v_add_co_u32 v3, vcc_lo, v3, 32
	v_add_co_ci_u32_e32 v4, vcc_lo, 0, v4, vcc_lo
	v_cmp_le_i64_e32 vcc_lo, s[14:15], v[3:4]
	s_or_b32 s7, vcc_lo, s7
	s_delay_alu instid0(SALU_CYCLE_1)
	s_and_not1_b32 exec_lo, exec_lo, s7
	s_cbranch_execz .LBB50_18
.LBB50_7:                               ; =>This Loop Header: Depth=1
                                        ;     Child Loop BB50_10 Depth 2
                                        ;       Child Loop BB50_13 Depth 3
	v_lshlrev_b64 v[5:6], 3, v[3:4]
	s_mov_b32 s18, exec_lo
	s_waitcnt lgkmcnt(0)
	s_delay_alu instid0(VALU_DEP_1) | instskip(NEXT) | instid1(VALU_DEP_2)
	v_add_co_u32 v5, vcc_lo, s8, v5
	v_add_co_ci_u32_e32 v6, vcc_lo, s9, v6, vcc_lo
	global_load_b64 v[5:6], v[5:6], off
	s_waitcnt vmcnt(0)
	v_sub_co_u32 v5, vcc_lo, v5, s4
	v_subrev_co_ci_u32_e32 v6, vcc_lo, 0, v6, vcc_lo
	s_delay_alu instid0(VALU_DEP_1) | instskip(NEXT) | instid1(VALU_DEP_1)
	v_lshlrev_b64 v[5:6], 3, v[5:6]
	v_add_co_u32 v5, vcc_lo, s10, v5
	s_delay_alu instid0(VALU_DEP_2)
	v_add_co_ci_u32_e32 v6, vcc_lo, s11, v6, vcc_lo
	global_load_b128 v[7:10], v[5:6], off
	s_waitcnt vmcnt(0)
	v_sub_co_u32 v5, vcc_lo, v9, s5
	v_subrev_co_ci_u32_e32 v6, vcc_lo, 0, v10, vcc_lo
	v_add_co_u32 v7, vcc_lo, v16, v7
	v_add_co_ci_u32_e32 v8, vcc_lo, v17, v8, vcc_lo
	s_delay_alu instid0(VALU_DEP_1)
	v_cmpx_lt_i64_e64 v[7:8], v[5:6]
	s_cbranch_execz .LBB50_6
; %bb.8:                                ;   in Loop: Header=BB50_7 Depth=1
	s_mov_b32 s19, 0
	s_branch .LBB50_10
.LBB50_9:                               ;   in Loop: Header=BB50_10 Depth=2
	s_or_b32 exec_lo, exec_lo, s21
	v_add_co_u32 v7, vcc_lo, v7, 16
	v_add_co_ci_u32_e32 v8, vcc_lo, 0, v8, vcc_lo
	v_cndmask_b32_e64 v9, 0, 1, s20
	s_delay_alu instid0(VALU_DEP_2) | instskip(NEXT) | instid1(VALU_DEP_2)
	v_cmp_ge_i64_e32 vcc_lo, v[7:8], v[5:6]
	v_add_co_u32 v1, s2, v1, v9
	s_delay_alu instid0(VALU_DEP_1) | instskip(SKIP_1) | instid1(SALU_CYCLE_1)
	v_add_co_ci_u32_e64 v2, s2, 0, v2, s2
	s_or_b32 s19, vcc_lo, s19
	s_and_not1_b32 exec_lo, exec_lo, s19
	s_cbranch_execz .LBB50_5
.LBB50_10:                              ;   Parent Loop BB50_7 Depth=1
                                        ; =>  This Loop Header: Depth=2
                                        ;       Child Loop BB50_13 Depth 3
	v_lshlrev_b64 v[9:10], 3, v[7:8]
	s_mov_b32 s21, 0
                                        ; implicit-def: $sgpr20
                                        ; implicit-def: $sgpr22
                                        ; implicit-def: $sgpr23
                                        ; implicit-def: $sgpr24
	s_delay_alu instid0(VALU_DEP_1) | instskip(NEXT) | instid1(VALU_DEP_2)
	v_add_co_u32 v9, vcc_lo, s16, v9
	v_add_co_ci_u32_e32 v10, vcc_lo, s17, v10, vcc_lo
	global_load_b64 v[9:10], v[9:10], off
	s_waitcnt vmcnt(0)
	v_sub_co_u32 v9, vcc_lo, v9, s5
	v_subrev_co_ci_u32_e32 v10, vcc_lo, 0, v10, vcc_lo
	s_delay_alu instid0(VALU_DEP_2) | instskip(NEXT) | instid1(VALU_DEP_1)
	v_mul_lo_u32 v11, 0x4f, v9
	v_and_b32_e32 v18, 0xfff, v11
	s_branch .LBB50_13
.LBB50_11:                              ;   in Loop: Header=BB50_13 Depth=3
	s_or_b32 exec_lo, exec_lo, s28
	s_delay_alu instid0(SALU_CYCLE_1)
	s_and_not1_b32 s2, s23, exec_lo
	s_and_b32 s23, s27, exec_lo
	s_and_not1_b32 s22, s22, exec_lo
	s_and_b32 s24, s26, exec_lo
	s_or_b32 s23, s2, s23
	s_or_b32 s22, s22, s24
                                        ; implicit-def: $sgpr24
.LBB50_12:                              ;   in Loop: Header=BB50_13 Depth=3
	s_or_b32 exec_lo, exec_lo, s25
	s_xor_b32 s2, s22, -1
	s_delay_alu instid0(SALU_CYCLE_1) | instskip(NEXT) | instid1(SALU_CYCLE_1)
	s_and_b32 s2, exec_lo, s2
	s_or_b32 s21, s2, s21
	s_and_not1_b32 s2, s24, exec_lo
	s_and_b32 s25, s23, exec_lo
	s_and_not1_b32 s20, s20, exec_lo
	s_or_b32 s24, s2, s25
	s_or_b32 s20, s20, s25
	s_and_not1_b32 exec_lo, exec_lo, s21
	s_cbranch_execz .LBB50_9
.LBB50_13:                              ;   Parent Loop BB50_7 Depth=1
                                        ;     Parent Loop BB50_10 Depth=2
                                        ; =>    This Inner Loop Header: Depth=3
	s_delay_alu instid0(VALU_DEP_1)
	v_lshl_add_u32 v19, v18, 3, 0
	s_and_not1_b32 s23, s23, exec_lo
	s_and_not1_b32 s22, s22, exec_lo
	s_mov_b32 s25, exec_lo
	ds_load_b64 v[11:12], v19
	s_waitcnt lgkmcnt(0)
	v_cmpx_ne_u64_e64 v[11:12], v[9:10]
	s_cbranch_execz .LBB50_12
; %bb.14:                               ;   in Loop: Header=BB50_13 Depth=3
	s_mov_b32 s2, exec_lo
                                        ; implicit-def: $sgpr27
                                        ; implicit-def: $sgpr26
	v_cmpx_ne_u64_e32 -1, v[11:12]
	s_xor_b32 s2, exec_lo, s2
; %bb.15:                               ;   in Loop: Header=BB50_13 Depth=3
	v_add_nc_u32_e32 v11, 1, v18
	s_mov_b32 s26, -1
	s_and_b32 s27, s24, exec_lo
                                        ; implicit-def: $vgpr19
	s_delay_alu instid0(VALU_DEP_1)
	v_and_b32_e32 v18, 0xfff, v11
; %bb.16:                               ;   in Loop: Header=BB50_13 Depth=3
	s_and_not1_saveexec_b32 s28, s2
	s_cbranch_execz .LBB50_11
; %bb.17:                               ;   in Loop: Header=BB50_13 Depth=3
	v_mov_b32_e32 v11, -1
	v_mov_b32_e32 v12, -1
	s_and_not1_b32 s26, s26, exec_lo
	s_and_not1_b32 s27, s27, exec_lo
	ds_cmpstore_rtn_b64 v[11:12], v19, v[9:10], v[11:12]
	s_waitcnt lgkmcnt(0)
	v_cmp_eq_u64_e32 vcc_lo, -1, v[11:12]
	v_cmp_ne_u64_e64 s2, -1, v[11:12]
	s_or_b32 s24, vcc_lo, s24
	s_delay_alu instid0(VALU_DEP_1)
	s_and_b32 s2, s2, exec_lo
	s_and_b32 s24, s24, exec_lo
	s_or_b32 s26, s26, s2
	s_or_b32 s27, s27, s24
	s_branch .LBB50_11
.LBB50_18:
	s_or_b32 exec_lo, exec_lo, s7
.LBB50_19:
	s_delay_alu instid0(SALU_CYCLE_1)
	s_or_b32 exec_lo, exec_lo, s3
.LBB50_20:
	s_load_b32 s2, s[0:1], 0x54
	s_waitcnt lgkmcnt(0)
	s_bfe_u32 s2, s2, 0x10008
	s_delay_alu instid0(SALU_CYCLE_1)
	s_cmp_eq_u32 s2, 0
	s_cbranch_scc1 .LBB50_34
; %bb.21:
	s_load_b64 s[2:3], s[0:1], 0x30
	s_lshl_b64 s[4:5], s[12:13], 3
	s_waitcnt lgkmcnt(0)
	s_add_u32 s2, s2, s4
	s_addc_u32 s3, s3, s5
	s_load_b128 s[8:11], s[2:3], 0x0
	v_sub_co_u32 v3, s2, v14, s6
	s_delay_alu instid0(VALU_DEP_1) | instskip(SKIP_2) | instid1(VALU_DEP_2)
	v_sub_co_ci_u32_e64 v4, null, 0, 0, s2
	s_mov_b32 s3, exec_lo
	s_waitcnt lgkmcnt(0)
	v_add_co_u32 v3, vcc_lo, v3, s8
	s_delay_alu instid0(VALU_DEP_2)
	v_add_co_ci_u32_e32 v4, vcc_lo, s9, v4, vcc_lo
	s_sub_u32 s4, s10, s6
	s_subb_u32 s5, s11, 0
	s_delay_alu instid0(VALU_DEP_1) | instid1(SALU_CYCLE_1)
	v_cmpx_gt_i64_e64 s[4:5], v[3:4]
	s_cbranch_execz .LBB50_33
; %bb.22:
	s_load_b64 s[8:9], s[0:1], 0x38
	s_mov_b32 s7, 0
	s_branch .LBB50_24
.LBB50_23:                              ;   in Loop: Header=BB50_24 Depth=1
	s_or_b32 exec_lo, exec_lo, s11
	v_add_co_u32 v3, vcc_lo, v3, 32
	v_add_co_ci_u32_e32 v4, vcc_lo, 0, v4, vcc_lo
	v_cndmask_b32_e64 v5, 0, 1, s10
	s_delay_alu instid0(VALU_DEP_2) | instskip(NEXT) | instid1(VALU_DEP_2)
	v_cmp_le_i64_e32 vcc_lo, s[4:5], v[3:4]
	v_add_co_u32 v1, s2, v1, v5
	s_delay_alu instid0(VALU_DEP_1) | instskip(SKIP_1) | instid1(SALU_CYCLE_1)
	v_add_co_ci_u32_e64 v2, s2, 0, v2, s2
	s_or_b32 s7, vcc_lo, s7
	s_and_not1_b32 exec_lo, exec_lo, s7
	s_cbranch_execz .LBB50_32
.LBB50_24:                              ; =>This Loop Header: Depth=1
                                        ;     Child Loop BB50_27 Depth 2
	v_lshlrev_b64 v[5:6], 3, v[3:4]
	s_mov_b32 s11, 0
                                        ; implicit-def: $sgpr10
                                        ; implicit-def: $sgpr14
                                        ; implicit-def: $sgpr15
                                        ; implicit-def: $sgpr16
	s_waitcnt lgkmcnt(0)
	s_delay_alu instid0(VALU_DEP_1) | instskip(NEXT) | instid1(VALU_DEP_2)
	v_add_co_u32 v5, vcc_lo, s8, v5
	v_add_co_ci_u32_e32 v6, vcc_lo, s9, v6, vcc_lo
	global_load_b64 v[5:6], v[5:6], off
	s_waitcnt vmcnt(0)
	v_sub_co_u32 v5, vcc_lo, v5, s6
	v_subrev_co_ci_u32_e32 v6, vcc_lo, 0, v6, vcc_lo
	s_delay_alu instid0(VALU_DEP_2) | instskip(NEXT) | instid1(VALU_DEP_1)
	v_mul_lo_u32 v7, 0x4f, v5
	v_and_b32_e32 v9, 0xfff, v7
	s_branch .LBB50_27
.LBB50_25:                              ;   in Loop: Header=BB50_27 Depth=2
	s_or_b32 exec_lo, exec_lo, s20
	s_delay_alu instid0(SALU_CYCLE_1)
	s_and_not1_b32 s2, s15, exec_lo
	s_and_b32 s15, s19, exec_lo
	s_and_not1_b32 s14, s14, exec_lo
	s_and_b32 s16, s18, exec_lo
	s_or_b32 s15, s2, s15
	s_or_b32 s14, s14, s16
                                        ; implicit-def: $sgpr16
.LBB50_26:                              ;   in Loop: Header=BB50_27 Depth=2
	s_or_b32 exec_lo, exec_lo, s17
	s_xor_b32 s2, s14, -1
	s_delay_alu instid0(SALU_CYCLE_1) | instskip(NEXT) | instid1(SALU_CYCLE_1)
	s_and_b32 s2, exec_lo, s2
	s_or_b32 s11, s2, s11
	s_and_not1_b32 s2, s16, exec_lo
	s_and_b32 s17, s15, exec_lo
	s_and_not1_b32 s10, s10, exec_lo
	s_or_b32 s16, s2, s17
	s_or_b32 s10, s10, s17
	s_and_not1_b32 exec_lo, exec_lo, s11
	s_cbranch_execz .LBB50_23
.LBB50_27:                              ;   Parent Loop BB50_24 Depth=1
                                        ; =>  This Inner Loop Header: Depth=2
	s_delay_alu instid0(VALU_DEP_1)
	v_lshl_add_u32 v10, v9, 3, 0
	s_and_not1_b32 s15, s15, exec_lo
	s_and_not1_b32 s14, s14, exec_lo
	s_mov_b32 s17, exec_lo
	ds_load_b64 v[7:8], v10
	s_waitcnt lgkmcnt(0)
	v_cmpx_ne_u64_e64 v[7:8], v[5:6]
	s_cbranch_execz .LBB50_26
; %bb.28:                               ;   in Loop: Header=BB50_27 Depth=2
	s_mov_b32 s2, exec_lo
                                        ; implicit-def: $sgpr19
                                        ; implicit-def: $sgpr18
	v_cmpx_ne_u64_e32 -1, v[7:8]
	s_xor_b32 s2, exec_lo, s2
; %bb.29:                               ;   in Loop: Header=BB50_27 Depth=2
	v_add_nc_u32_e32 v7, 1, v9
	s_mov_b32 s18, -1
	s_and_b32 s19, s16, exec_lo
                                        ; implicit-def: $vgpr10
	s_delay_alu instid0(VALU_DEP_1)
	v_and_b32_e32 v9, 0xfff, v7
; %bb.30:                               ;   in Loop: Header=BB50_27 Depth=2
	s_and_not1_saveexec_b32 s20, s2
	s_cbranch_execz .LBB50_25
; %bb.31:                               ;   in Loop: Header=BB50_27 Depth=2
	v_mov_b32_e32 v7, -1
	v_mov_b32_e32 v8, -1
	s_and_not1_b32 s18, s18, exec_lo
	s_and_not1_b32 s19, s19, exec_lo
	ds_cmpstore_rtn_b64 v[7:8], v10, v[5:6], v[7:8]
	s_waitcnt lgkmcnt(0)
	v_cmp_eq_u64_e32 vcc_lo, -1, v[7:8]
	v_cmp_ne_u64_e64 s2, -1, v[7:8]
	s_or_b32 s16, vcc_lo, s16
	s_delay_alu instid0(VALU_DEP_1)
	s_and_b32 s2, s2, exec_lo
	s_and_b32 s16, s16, exec_lo
	s_or_b32 s18, s18, s2
	s_or_b32 s19, s19, s16
	s_branch .LBB50_25
.LBB50_32:
	s_or_b32 exec_lo, exec_lo, s7
.LBB50_33:
	s_delay_alu instid0(SALU_CYCLE_1)
	s_or_b32 exec_lo, exec_lo, s3
.LBB50_34:
	v_mbcnt_lo_u32_b32 v5, -1, 0
	s_mov_b32 s2, exec_lo
	s_barrier
	buffer_gl0_inv
	v_xor_b32_e32 v3, 8, v5
	v_xor_b32_e32 v4, 4, v5
	s_delay_alu instid0(VALU_DEP_2) | instskip(SKIP_1) | instid1(VALU_DEP_3)
	v_cmp_gt_i32_e32 vcc_lo, 32, v3
	v_cndmask_b32_e32 v3, v5, v3, vcc_lo
	v_cmp_gt_i32_e32 vcc_lo, 32, v4
	v_cndmask_b32_e32 v4, v5, v4, vcc_lo
	s_delay_alu instid0(VALU_DEP_1) | instskip(NEXT) | instid1(VALU_DEP_4)
	v_lshlrev_b32_e32 v4, 2, v4
	v_lshlrev_b32_e32 v3, 2, v3
	ds_bpermute_b32 v6, v3, v1
	ds_bpermute_b32 v7, v3, v2
	s_waitcnt lgkmcnt(1)
	v_add_co_u32 v1, vcc_lo, v1, v6
	v_add_co_ci_u32_e32 v2, vcc_lo, 0, v2, vcc_lo
	v_xor_b32_e32 v6, 2, v5
	ds_bpermute_b32 v8, v4, v1
	v_add_co_u32 v1, vcc_lo, 0, v1
	s_waitcnt lgkmcnt(1)
	v_add_co_ci_u32_e32 v2, vcc_lo, v7, v2, vcc_lo
	v_cmp_gt_i32_e32 vcc_lo, 32, v6
	ds_bpermute_b32 v7, v4, v2
	v_cndmask_b32_e32 v6, v5, v6, vcc_lo
	s_delay_alu instid0(VALU_DEP_1)
	v_lshlrev_b32_e32 v6, 2, v6
	s_waitcnt lgkmcnt(1)
	v_add_co_u32 v1, vcc_lo, v1, v8
	v_add_co_ci_u32_e32 v2, vcc_lo, 0, v2, vcc_lo
	ds_bpermute_b32 v8, v6, v1
	v_add_co_u32 v1, vcc_lo, v1, 0
	s_waitcnt lgkmcnt(1)
	v_add_co_ci_u32_e32 v2, vcc_lo, v2, v7, vcc_lo
	v_xor_b32_e32 v7, 1, v5
	s_delay_alu instid0(VALU_DEP_1)
	v_cmp_gt_i32_e32 vcc_lo, 32, v7
	v_cndmask_b32_e32 v7, v5, v7, vcc_lo
	ds_bpermute_b32 v9, v6, v2
	v_lshlrev_b32_e32 v7, 2, v7
	s_waitcnt lgkmcnt(1)
	v_add_co_u32 v1, vcc_lo, v1, v8
	v_add_co_ci_u32_e32 v8, vcc_lo, 0, v2, vcc_lo
	s_delay_alu instid0(VALU_DEP_2) | instskip(SKIP_1) | instid1(VALU_DEP_2)
	v_add_co_u32 v2, vcc_lo, v1, 0
	s_waitcnt lgkmcnt(0)
	v_add_co_ci_u32_e32 v8, vcc_lo, v8, v9, vcc_lo
	ds_bpermute_b32 v9, v7, v1
	ds_bpermute_b32 v1, v7, v8
	v_cmpx_eq_u32_e32 15, v15
	s_cbranch_execz .LBB50_36
; %bb.35:
	s_waitcnt lgkmcnt(1)
	v_add_co_u32 v2, vcc_lo, v2, v9
	v_add_co_ci_u32_e32 v9, vcc_lo, 0, v8, vcc_lo
	v_lshl_add_u32 v10, v14, 3, 0
	s_delay_alu instid0(VALU_DEP_3) | instskip(SKIP_1) | instid1(VALU_DEP_3)
	v_add_co_u32 v8, vcc_lo, v2, 0
	s_waitcnt lgkmcnt(0)
	v_add_co_ci_u32_e32 v9, vcc_lo, v9, v1, vcc_lo
	ds_store_b64 v10, v[8:9]
.LBB50_36:
	s_or_b32 exec_lo, exec_lo, s2
	s_waitcnt lgkmcnt(0)
	v_mov_b32_e32 v1, 0
	v_mov_b32_e32 v2, 0
	s_mov_b32 s2, exec_lo
	s_barrier
	buffer_gl0_inv
	v_cmpx_gt_u32_e32 32, v0
	s_cbranch_execz .LBB50_38
; %bb.37:
	ds_load_b64 v[1:2], v13
.LBB50_38:
	s_or_b32 exec_lo, exec_lo, s2
	v_xor_b32_e32 v8, 16, v5
	s_mov_b32 s2, exec_lo
	s_delay_alu instid0(VALU_DEP_1) | instskip(SKIP_1) | instid1(VALU_DEP_1)
	v_cmp_gt_i32_e32 vcc_lo, 32, v8
	v_cndmask_b32_e32 v5, v5, v8, vcc_lo
	v_lshlrev_b32_e32 v5, 2, v5
	s_waitcnt lgkmcnt(0)
	ds_bpermute_b32 v8, v5, v1
	ds_bpermute_b32 v5, v5, v2
	s_waitcnt lgkmcnt(1)
	v_add_co_u32 v1, vcc_lo, v1, v8
	v_add_co_ci_u32_e32 v2, vcc_lo, 0, v2, vcc_lo
	ds_bpermute_b32 v8, v3, v1
	v_add_co_u32 v1, vcc_lo, 0, v1
	s_waitcnt lgkmcnt(1)
	v_add_co_ci_u32_e32 v2, vcc_lo, v5, v2, vcc_lo
	ds_bpermute_b32 v3, v3, v2
	s_waitcnt lgkmcnt(1)
	v_add_co_u32 v1, vcc_lo, v1, v8
	v_add_co_ci_u32_e32 v2, vcc_lo, 0, v2, vcc_lo
	ds_bpermute_b32 v5, v4, v1
	v_add_co_u32 v1, vcc_lo, v1, 0
	s_waitcnt lgkmcnt(1)
	v_add_co_ci_u32_e32 v2, vcc_lo, v2, v3, vcc_lo
	;; [unrolled: 8-line block ×3, first 2 shown]
	ds_bpermute_b32 v3, v6, v2
	s_waitcnt lgkmcnt(1)
	v_add_co_u32 v1, vcc_lo, v1, v4
	v_add_co_ci_u32_e32 v4, vcc_lo, 0, v2, vcc_lo
	s_delay_alu instid0(VALU_DEP_2) | instskip(SKIP_1) | instid1(VALU_DEP_2)
	v_add_co_u32 v2, vcc_lo, v1, 0
	s_waitcnt lgkmcnt(0)
	v_add_co_ci_u32_e32 v3, vcc_lo, v4, v3, vcc_lo
	ds_bpermute_b32 v4, v7, v1
	ds_bpermute_b32 v1, v7, v3
	v_cmpx_eq_u32_e32 31, v0
	s_cbranch_execz .LBB50_40
; %bb.39:
	s_load_b64 s[0:1], s[0:1], 0x40
	s_waitcnt lgkmcnt(0)
	v_add_co_u32 v0, vcc_lo, v2, v4
	v_add_co_ci_u32_e32 v2, vcc_lo, 0, v3, vcc_lo
	s_lshl_b64 s[2:3], s[12:13], 3
	s_delay_alu instid0(VALU_DEP_2) | instskip(SKIP_1) | instid1(VALU_DEP_3)
	v_add_co_u32 v0, vcc_lo, v0, 0
	v_mov_b32_e32 v3, 0
	v_add_co_ci_u32_e32 v1, vcc_lo, v2, v1, vcc_lo
	s_add_u32 s0, s0, s2
	s_addc_u32 s1, s1, s3
	global_store_b64 v3, v[0:1], s[0:1]
.LBB50_40:
	s_nop 0
	s_sendmsg sendmsg(MSG_DEALLOC_VGPRS)
	s_endpgm
	.section	.rodata,"a",@progbits
	.p2align	6, 0x0
	.amdhsa_kernel _ZN9rocsparseL25csrgemm_nnz_block_per_rowILj512ELj16ELj4096ELj79EllEEvPKT4_S3_PKT3_S3_S6_S3_S6_S3_PS4_21rocsparse_index_base_S8_S8_bb
		.amdhsa_group_segment_fixed_size 0
		.amdhsa_private_segment_fixed_size 0
		.amdhsa_kernarg_size 88
		.amdhsa_user_sgpr_count 15
		.amdhsa_user_sgpr_dispatch_ptr 0
		.amdhsa_user_sgpr_queue_ptr 0
		.amdhsa_user_sgpr_kernarg_segment_ptr 1
		.amdhsa_user_sgpr_dispatch_id 0
		.amdhsa_user_sgpr_private_segment_size 0
		.amdhsa_wavefront_size32 1
		.amdhsa_uses_dynamic_stack 0
		.amdhsa_enable_private_segment 0
		.amdhsa_system_sgpr_workgroup_id_x 1
		.amdhsa_system_sgpr_workgroup_id_y 0
		.amdhsa_system_sgpr_workgroup_id_z 0
		.amdhsa_system_sgpr_workgroup_info 0
		.amdhsa_system_vgpr_workitem_id 0
		.amdhsa_next_free_vgpr 20
		.amdhsa_next_free_sgpr 29
		.amdhsa_reserve_vcc 1
		.amdhsa_float_round_mode_32 0
		.amdhsa_float_round_mode_16_64 0
		.amdhsa_float_denorm_mode_32 3
		.amdhsa_float_denorm_mode_16_64 3
		.amdhsa_dx10_clamp 1
		.amdhsa_ieee_mode 1
		.amdhsa_fp16_overflow 0
		.amdhsa_workgroup_processor_mode 1
		.amdhsa_memory_ordered 1
		.amdhsa_forward_progress 0
		.amdhsa_shared_vgpr_count 0
		.amdhsa_exception_fp_ieee_invalid_op 0
		.amdhsa_exception_fp_denorm_src 0
		.amdhsa_exception_fp_ieee_div_zero 0
		.amdhsa_exception_fp_ieee_overflow 0
		.amdhsa_exception_fp_ieee_underflow 0
		.amdhsa_exception_fp_ieee_inexact 0
		.amdhsa_exception_int_div_zero 0
	.end_amdhsa_kernel
	.section	.text._ZN9rocsparseL25csrgemm_nnz_block_per_rowILj512ELj16ELj4096ELj79EllEEvPKT4_S3_PKT3_S3_S6_S3_S6_S3_PS4_21rocsparse_index_base_S8_S8_bb,"axG",@progbits,_ZN9rocsparseL25csrgemm_nnz_block_per_rowILj512ELj16ELj4096ELj79EllEEvPKT4_S3_PKT3_S3_S6_S3_S6_S3_PS4_21rocsparse_index_base_S8_S8_bb,comdat
.Lfunc_end50:
	.size	_ZN9rocsparseL25csrgemm_nnz_block_per_rowILj512ELj16ELj4096ELj79EllEEvPKT4_S3_PKT3_S3_S6_S3_S6_S3_PS4_21rocsparse_index_base_S8_S8_bb, .Lfunc_end50-_ZN9rocsparseL25csrgemm_nnz_block_per_rowILj512ELj16ELj4096ELj79EllEEvPKT4_S3_PKT3_S3_S6_S3_S6_S3_PS4_21rocsparse_index_base_S8_S8_bb
                                        ; -- End function
	.section	.AMDGPU.csdata,"",@progbits
; Kernel info:
; codeLenInByte = 2228
; NumSgprs: 31
; NumVgprs: 20
; ScratchSize: 0
; MemoryBound: 0
; FloatMode: 240
; IeeeMode: 1
; LDSByteSize: 0 bytes/workgroup (compile time only)
; SGPRBlocks: 3
; VGPRBlocks: 2
; NumSGPRsForWavesPerEU: 31
; NumVGPRsForWavesPerEU: 20
; Occupancy: 16
; WaveLimiterHint : 1
; COMPUTE_PGM_RSRC2:SCRATCH_EN: 0
; COMPUTE_PGM_RSRC2:USER_SGPR: 15
; COMPUTE_PGM_RSRC2:TRAP_HANDLER: 0
; COMPUTE_PGM_RSRC2:TGID_X_EN: 1
; COMPUTE_PGM_RSRC2:TGID_Y_EN: 0
; COMPUTE_PGM_RSRC2:TGID_Z_EN: 0
; COMPUTE_PGM_RSRC2:TIDIG_COMP_CNT: 0
	.section	.text._ZN9rocsparseL25csrgemm_nnz_block_per_rowILj1024ELj32ELj8192ELj79EllEEvPKT4_S3_PKT3_S3_S6_S3_S6_S3_PS4_21rocsparse_index_base_S8_S8_bb,"axG",@progbits,_ZN9rocsparseL25csrgemm_nnz_block_per_rowILj1024ELj32ELj8192ELj79EllEEvPKT4_S3_PKT3_S3_S6_S3_S6_S3_PS4_21rocsparse_index_base_S8_S8_bb,comdat
	.globl	_ZN9rocsparseL25csrgemm_nnz_block_per_rowILj1024ELj32ELj8192ELj79EllEEvPKT4_S3_PKT3_S3_S6_S3_S6_S3_PS4_21rocsparse_index_base_S8_S8_bb ; -- Begin function _ZN9rocsparseL25csrgemm_nnz_block_per_rowILj1024ELj32ELj8192ELj79EllEEvPKT4_S3_PKT3_S3_S6_S3_S6_S3_PS4_21rocsparse_index_base_S8_S8_bb
	.p2align	8
	.type	_ZN9rocsparseL25csrgemm_nnz_block_per_rowILj1024ELj32ELj8192ELj79EllEEvPKT4_S3_PKT3_S3_S6_S3_S6_S3_PS4_21rocsparse_index_base_S8_S8_bb,@function
_ZN9rocsparseL25csrgemm_nnz_block_per_rowILj1024ELj32ELj8192ELj79EllEEvPKT4_S3_PKT3_S3_S6_S3_S6_S3_PS4_21rocsparse_index_base_S8_S8_bb: ; @_ZN9rocsparseL25csrgemm_nnz_block_per_rowILj1024ELj32ELj8192ELj79EllEEvPKT4_S3_PKT3_S3_S6_S3_S6_S3_PS4_21rocsparse_index_base_S8_S8_bb
; %bb.0:
	s_clause 0x1
	s_load_b128 s[8:11], s[0:1], 0x0
	s_load_b128 s[4:7], s[0:1], 0x48
	s_mov_b32 s2, s15
	s_mov_b32 s3, 0
	v_lshl_add_u32 v13, v0, 3, 0
	v_and_b32_e32 v15, 31, v0
	v_lshrrev_b32_e32 v14, 5, v0
	s_waitcnt lgkmcnt(0)
	s_load_b64 s[8:9], s[8:9], 0x0
	s_waitcnt lgkmcnt(0)
	s_lshl_b64 s[8:9], s[8:9], 3
	s_delay_alu instid0(SALU_CYCLE_1) | instskip(SKIP_2) | instid1(SALU_CYCLE_1)
	s_add_u32 s8, s10, s8
	s_addc_u32 s9, s11, s9
	s_lshl_b64 s[2:3], s[2:3], 3
	s_add_u32 s2, s8, s2
	s_addc_u32 s3, s9, s3
	s_bitcmp0_b32 s7, 0
	s_load_b64 s[12:13], s[2:3], 0x0
	s_mov_b32 s2, -1
	s_delay_alu instid0(SALU_CYCLE_1) | instskip(NEXT) | instid1(SALU_CYCLE_1)
	s_mov_b32 s3, s2
	v_dual_mov_b32 v1, s2 :: v_dual_mov_b32 v2, s3
	ds_store_2addr_stride64_b64 v13, v[1:2], v[1:2] offset1:16
	ds_store_2addr_stride64_b64 v13, v[1:2], v[1:2] offset0:32 offset1:48
	ds_store_2addr_stride64_b64 v13, v[1:2], v[1:2] offset0:64 offset1:80
	;; [unrolled: 1-line block ×3, first 2 shown]
	v_mov_b32_e32 v1, 0
	v_mov_b32_e32 v2, 0
	s_waitcnt lgkmcnt(0)
	s_barrier
	buffer_gl0_inv
	s_cbranch_scc1 .LBB51_18
; %bb.1:
	s_load_b64 s[2:3], s[0:1], 0x10
	s_lshl_b64 s[8:9], s[12:13], 3
	s_waitcnt lgkmcnt(0)
	s_add_u32 s2, s2, s8
	s_addc_u32 s3, s3, s9
	s_load_b128 s[8:11], s[2:3], 0x0
	v_sub_co_u32 v1, s2, v14, s4
	s_delay_alu instid0(VALU_DEP_1) | instskip(SKIP_2) | instid1(VALU_DEP_2)
	v_sub_co_ci_u32_e64 v2, null, 0, 0, s2
	s_mov_b32 s3, exec_lo
	s_waitcnt lgkmcnt(0)
	v_add_co_u32 v3, vcc_lo, v1, s8
	s_delay_alu instid0(VALU_DEP_2) | instskip(SKIP_4) | instid1(SALU_CYCLE_1)
	v_add_co_ci_u32_e32 v4, vcc_lo, s9, v2, vcc_lo
	v_mov_b32_e32 v1, 0
	v_mov_b32_e32 v2, 0
	s_sub_u32 s14, s10, s4
	s_subb_u32 s15, s11, 0
	v_cmpx_gt_i64_e64 s[14:15], v[3:4]
	s_cbranch_execz .LBB51_17
; %bb.2:
	s_clause 0x1
	s_load_b128 s[8:11], s[0:1], 0x18
	s_load_b64 s[16:17], s[0:1], 0x28
	v_sub_co_u32 v16, s2, v15, s5
	v_mov_b32_e32 v1, 0
	v_mov_b32_e32 v2, 0
	v_sub_co_ci_u32_e64 v17, null, 0, 0, s2
	s_mov_b32 s7, 0
	s_branch .LBB51_5
.LBB51_3:                               ;   in Loop: Header=BB51_5 Depth=1
	s_or_b32 exec_lo, exec_lo, s19
.LBB51_4:                               ;   in Loop: Header=BB51_5 Depth=1
	s_delay_alu instid0(SALU_CYCLE_1) | instskip(SKIP_2) | instid1(VALU_DEP_1)
	s_or_b32 exec_lo, exec_lo, s18
	v_add_co_u32 v3, vcc_lo, v3, 32
	v_add_co_ci_u32_e32 v4, vcc_lo, 0, v4, vcc_lo
	v_cmp_le_i64_e32 vcc_lo, s[14:15], v[3:4]
	s_or_b32 s7, vcc_lo, s7
	s_delay_alu instid0(SALU_CYCLE_1)
	s_and_not1_b32 exec_lo, exec_lo, s7
	s_cbranch_execz .LBB51_16
.LBB51_5:                               ; =>This Loop Header: Depth=1
                                        ;     Child Loop BB51_8 Depth 2
                                        ;       Child Loop BB51_11 Depth 3
	v_lshlrev_b64 v[5:6], 3, v[3:4]
	s_mov_b32 s18, exec_lo
	s_waitcnt lgkmcnt(0)
	s_delay_alu instid0(VALU_DEP_1) | instskip(NEXT) | instid1(VALU_DEP_2)
	v_add_co_u32 v5, vcc_lo, s8, v5
	v_add_co_ci_u32_e32 v6, vcc_lo, s9, v6, vcc_lo
	global_load_b64 v[5:6], v[5:6], off
	s_waitcnt vmcnt(0)
	v_sub_co_u32 v5, vcc_lo, v5, s4
	v_subrev_co_ci_u32_e32 v6, vcc_lo, 0, v6, vcc_lo
	s_delay_alu instid0(VALU_DEP_1) | instskip(NEXT) | instid1(VALU_DEP_1)
	v_lshlrev_b64 v[5:6], 3, v[5:6]
	v_add_co_u32 v5, vcc_lo, s10, v5
	s_delay_alu instid0(VALU_DEP_2)
	v_add_co_ci_u32_e32 v6, vcc_lo, s11, v6, vcc_lo
	global_load_b128 v[7:10], v[5:6], off
	s_waitcnt vmcnt(0)
	v_sub_co_u32 v5, vcc_lo, v9, s5
	v_subrev_co_ci_u32_e32 v6, vcc_lo, 0, v10, vcc_lo
	v_add_co_u32 v7, vcc_lo, v16, v7
	v_add_co_ci_u32_e32 v8, vcc_lo, v17, v8, vcc_lo
	s_delay_alu instid0(VALU_DEP_1)
	v_cmpx_lt_i64_e64 v[7:8], v[5:6]
	s_cbranch_execz .LBB51_4
; %bb.6:                                ;   in Loop: Header=BB51_5 Depth=1
	s_mov_b32 s19, 0
	s_branch .LBB51_8
.LBB51_7:                               ;   in Loop: Header=BB51_8 Depth=2
	s_or_b32 exec_lo, exec_lo, s21
	v_add_co_u32 v7, vcc_lo, v7, 32
	v_add_co_ci_u32_e32 v8, vcc_lo, 0, v8, vcc_lo
	v_cndmask_b32_e64 v9, 0, 1, s20
	s_delay_alu instid0(VALU_DEP_2) | instskip(NEXT) | instid1(VALU_DEP_2)
	v_cmp_ge_i64_e32 vcc_lo, v[7:8], v[5:6]
	v_add_co_u32 v1, s2, v1, v9
	s_delay_alu instid0(VALU_DEP_1) | instskip(SKIP_1) | instid1(SALU_CYCLE_1)
	v_add_co_ci_u32_e64 v2, s2, 0, v2, s2
	s_or_b32 s19, vcc_lo, s19
	s_and_not1_b32 exec_lo, exec_lo, s19
	s_cbranch_execz .LBB51_3
.LBB51_8:                               ;   Parent Loop BB51_5 Depth=1
                                        ; =>  This Loop Header: Depth=2
                                        ;       Child Loop BB51_11 Depth 3
	v_lshlrev_b64 v[9:10], 3, v[7:8]
	s_mov_b32 s21, 0
                                        ; implicit-def: $sgpr20
                                        ; implicit-def: $sgpr22
                                        ; implicit-def: $sgpr23
                                        ; implicit-def: $sgpr24
	s_delay_alu instid0(VALU_DEP_1) | instskip(NEXT) | instid1(VALU_DEP_2)
	v_add_co_u32 v9, vcc_lo, s16, v9
	v_add_co_ci_u32_e32 v10, vcc_lo, s17, v10, vcc_lo
	global_load_b64 v[9:10], v[9:10], off
	s_waitcnt vmcnt(0)
	v_sub_co_u32 v9, vcc_lo, v9, s5
	v_subrev_co_ci_u32_e32 v10, vcc_lo, 0, v10, vcc_lo
	s_delay_alu instid0(VALU_DEP_2) | instskip(NEXT) | instid1(VALU_DEP_1)
	v_mul_lo_u32 v11, 0x4f, v9
	v_and_b32_e32 v18, 0x1fff, v11
	s_branch .LBB51_11
.LBB51_9:                               ;   in Loop: Header=BB51_11 Depth=3
	s_or_b32 exec_lo, exec_lo, s28
	s_delay_alu instid0(SALU_CYCLE_1)
	s_and_not1_b32 s2, s23, exec_lo
	s_and_b32 s23, s27, exec_lo
	s_and_not1_b32 s22, s22, exec_lo
	s_and_b32 s24, s26, exec_lo
	s_or_b32 s23, s2, s23
	s_or_b32 s22, s22, s24
                                        ; implicit-def: $sgpr24
.LBB51_10:                              ;   in Loop: Header=BB51_11 Depth=3
	s_or_b32 exec_lo, exec_lo, s25
	s_xor_b32 s2, s22, -1
	s_delay_alu instid0(SALU_CYCLE_1) | instskip(NEXT) | instid1(SALU_CYCLE_1)
	s_and_b32 s2, exec_lo, s2
	s_or_b32 s21, s2, s21
	s_and_not1_b32 s2, s24, exec_lo
	s_and_b32 s25, s23, exec_lo
	s_and_not1_b32 s20, s20, exec_lo
	s_or_b32 s24, s2, s25
	s_or_b32 s20, s20, s25
	s_and_not1_b32 exec_lo, exec_lo, s21
	s_cbranch_execz .LBB51_7
.LBB51_11:                              ;   Parent Loop BB51_5 Depth=1
                                        ;     Parent Loop BB51_8 Depth=2
                                        ; =>    This Inner Loop Header: Depth=3
	s_delay_alu instid0(VALU_DEP_1)
	v_lshl_add_u32 v19, v18, 3, 0
	s_and_not1_b32 s23, s23, exec_lo
	s_and_not1_b32 s22, s22, exec_lo
	s_mov_b32 s25, exec_lo
	ds_load_b64 v[11:12], v19
	s_waitcnt lgkmcnt(0)
	v_cmpx_ne_u64_e64 v[11:12], v[9:10]
	s_cbranch_execz .LBB51_10
; %bb.12:                               ;   in Loop: Header=BB51_11 Depth=3
	s_mov_b32 s2, exec_lo
                                        ; implicit-def: $sgpr27
                                        ; implicit-def: $sgpr26
	v_cmpx_ne_u64_e32 -1, v[11:12]
	s_xor_b32 s2, exec_lo, s2
; %bb.13:                               ;   in Loop: Header=BB51_11 Depth=3
	v_add_nc_u32_e32 v11, 1, v18
	s_mov_b32 s26, -1
	s_and_b32 s27, s24, exec_lo
                                        ; implicit-def: $vgpr19
	s_delay_alu instid0(VALU_DEP_1)
	v_and_b32_e32 v18, 0x1fff, v11
; %bb.14:                               ;   in Loop: Header=BB51_11 Depth=3
	s_and_not1_saveexec_b32 s28, s2
	s_cbranch_execz .LBB51_9
; %bb.15:                               ;   in Loop: Header=BB51_11 Depth=3
	v_mov_b32_e32 v11, -1
	v_mov_b32_e32 v12, -1
	s_and_not1_b32 s26, s26, exec_lo
	s_and_not1_b32 s27, s27, exec_lo
	ds_cmpstore_rtn_b64 v[11:12], v19, v[9:10], v[11:12]
	s_waitcnt lgkmcnt(0)
	v_cmp_eq_u64_e32 vcc_lo, -1, v[11:12]
	v_cmp_ne_u64_e64 s2, -1, v[11:12]
	s_or_b32 s24, vcc_lo, s24
	s_delay_alu instid0(VALU_DEP_1)
	s_and_b32 s2, s2, exec_lo
	s_and_b32 s24, s24, exec_lo
	s_or_b32 s26, s26, s2
	s_or_b32 s27, s27, s24
	s_branch .LBB51_9
.LBB51_16:
	s_or_b32 exec_lo, exec_lo, s7
.LBB51_17:
	s_delay_alu instid0(SALU_CYCLE_1)
	s_or_b32 exec_lo, exec_lo, s3
.LBB51_18:
	s_load_b32 s2, s[0:1], 0x54
	s_waitcnt lgkmcnt(0)
	s_bfe_u32 s2, s2, 0x10008
	s_delay_alu instid0(SALU_CYCLE_1)
	s_cmp_eq_u32 s2, 0
	s_cbranch_scc1 .LBB51_32
; %bb.19:
	s_load_b64 s[2:3], s[0:1], 0x30
	s_lshl_b64 s[4:5], s[12:13], 3
	s_mov_b32 s7, 0
	s_waitcnt lgkmcnt(0)
	s_add_u32 s2, s2, s4
	s_addc_u32 s3, s3, s5
	s_load_b128 s[8:11], s[2:3], 0x0
	v_sub_co_u32 v3, s2, v14, s6
	s_delay_alu instid0(VALU_DEP_1) | instskip(SKIP_2) | instid1(VALU_DEP_2)
	v_sub_co_ci_u32_e64 v4, null, 0, 0, s2
	s_mov_b32 s3, exec_lo
	s_waitcnt lgkmcnt(0)
	v_add_co_u32 v3, vcc_lo, v3, s8
	s_delay_alu instid0(VALU_DEP_2)
	v_add_co_ci_u32_e32 v4, vcc_lo, s9, v4, vcc_lo
	s_sub_u32 s4, s10, s6
	s_subb_u32 s5, s11, 0
	s_delay_alu instid0(VALU_DEP_1) | instid1(SALU_CYCLE_1)
	v_cmpx_gt_i64_e64 s[4:5], v[3:4]
	s_cbranch_execz .LBB51_31
; %bb.20:
	s_load_b64 s[8:9], s[0:1], 0x38
	s_branch .LBB51_22
.LBB51_21:                              ;   in Loop: Header=BB51_22 Depth=1
	s_or_b32 exec_lo, exec_lo, s11
	v_add_co_u32 v3, vcc_lo, v3, 32
	v_add_co_ci_u32_e32 v4, vcc_lo, 0, v4, vcc_lo
	v_cndmask_b32_e64 v5, 0, 1, s10
	s_delay_alu instid0(VALU_DEP_2) | instskip(NEXT) | instid1(VALU_DEP_2)
	v_cmp_le_i64_e32 vcc_lo, s[4:5], v[3:4]
	v_add_co_u32 v1, s2, v1, v5
	s_delay_alu instid0(VALU_DEP_1) | instskip(SKIP_1) | instid1(SALU_CYCLE_1)
	v_add_co_ci_u32_e64 v2, s2, 0, v2, s2
	s_or_b32 s7, vcc_lo, s7
	s_and_not1_b32 exec_lo, exec_lo, s7
	s_cbranch_execz .LBB51_30
.LBB51_22:                              ; =>This Loop Header: Depth=1
                                        ;     Child Loop BB51_25 Depth 2
	v_lshlrev_b64 v[5:6], 3, v[3:4]
	s_mov_b32 s11, 0
                                        ; implicit-def: $sgpr10
                                        ; implicit-def: $sgpr14
                                        ; implicit-def: $sgpr15
                                        ; implicit-def: $sgpr16
	s_waitcnt lgkmcnt(0)
	s_delay_alu instid0(VALU_DEP_1) | instskip(NEXT) | instid1(VALU_DEP_2)
	v_add_co_u32 v5, vcc_lo, s8, v5
	v_add_co_ci_u32_e32 v6, vcc_lo, s9, v6, vcc_lo
	global_load_b64 v[5:6], v[5:6], off
	s_waitcnt vmcnt(0)
	v_sub_co_u32 v5, vcc_lo, v5, s6
	v_subrev_co_ci_u32_e32 v6, vcc_lo, 0, v6, vcc_lo
	s_delay_alu instid0(VALU_DEP_2) | instskip(NEXT) | instid1(VALU_DEP_1)
	v_mul_lo_u32 v7, 0x4f, v5
	v_and_b32_e32 v9, 0x1fff, v7
	s_branch .LBB51_25
.LBB51_23:                              ;   in Loop: Header=BB51_25 Depth=2
	s_or_b32 exec_lo, exec_lo, s20
	s_delay_alu instid0(SALU_CYCLE_1)
	s_and_not1_b32 s2, s15, exec_lo
	s_and_b32 s15, s19, exec_lo
	s_and_not1_b32 s14, s14, exec_lo
	s_and_b32 s16, s18, exec_lo
	s_or_b32 s15, s2, s15
	s_or_b32 s14, s14, s16
                                        ; implicit-def: $sgpr16
.LBB51_24:                              ;   in Loop: Header=BB51_25 Depth=2
	s_or_b32 exec_lo, exec_lo, s17
	s_xor_b32 s2, s14, -1
	s_delay_alu instid0(SALU_CYCLE_1) | instskip(NEXT) | instid1(SALU_CYCLE_1)
	s_and_b32 s2, exec_lo, s2
	s_or_b32 s11, s2, s11
	s_and_not1_b32 s2, s16, exec_lo
	s_and_b32 s17, s15, exec_lo
	s_and_not1_b32 s10, s10, exec_lo
	s_or_b32 s16, s2, s17
	s_or_b32 s10, s10, s17
	s_and_not1_b32 exec_lo, exec_lo, s11
	s_cbranch_execz .LBB51_21
.LBB51_25:                              ;   Parent Loop BB51_22 Depth=1
                                        ; =>  This Inner Loop Header: Depth=2
	s_delay_alu instid0(VALU_DEP_1)
	v_lshl_add_u32 v10, v9, 3, 0
	s_and_not1_b32 s15, s15, exec_lo
	s_and_not1_b32 s14, s14, exec_lo
	s_mov_b32 s17, exec_lo
	ds_load_b64 v[7:8], v10
	s_waitcnt lgkmcnt(0)
	v_cmpx_ne_u64_e64 v[7:8], v[5:6]
	s_cbranch_execz .LBB51_24
; %bb.26:                               ;   in Loop: Header=BB51_25 Depth=2
	s_mov_b32 s2, exec_lo
                                        ; implicit-def: $sgpr19
                                        ; implicit-def: $sgpr18
	v_cmpx_ne_u64_e32 -1, v[7:8]
	s_xor_b32 s2, exec_lo, s2
; %bb.27:                               ;   in Loop: Header=BB51_25 Depth=2
	v_add_nc_u32_e32 v7, 1, v9
	s_mov_b32 s18, -1
	s_and_b32 s19, s16, exec_lo
                                        ; implicit-def: $vgpr10
	s_delay_alu instid0(VALU_DEP_1)
	v_and_b32_e32 v9, 0x1fff, v7
; %bb.28:                               ;   in Loop: Header=BB51_25 Depth=2
	s_and_not1_saveexec_b32 s20, s2
	s_cbranch_execz .LBB51_23
; %bb.29:                               ;   in Loop: Header=BB51_25 Depth=2
	v_mov_b32_e32 v7, -1
	v_mov_b32_e32 v8, -1
	s_and_not1_b32 s18, s18, exec_lo
	s_and_not1_b32 s19, s19, exec_lo
	ds_cmpstore_rtn_b64 v[7:8], v10, v[5:6], v[7:8]
	s_waitcnt lgkmcnt(0)
	v_cmp_eq_u64_e32 vcc_lo, -1, v[7:8]
	v_cmp_ne_u64_e64 s2, -1, v[7:8]
	s_or_b32 s16, vcc_lo, s16
	s_delay_alu instid0(VALU_DEP_1)
	s_and_b32 s2, s2, exec_lo
	s_and_b32 s16, s16, exec_lo
	s_or_b32 s18, s18, s2
	s_or_b32 s19, s19, s16
	s_branch .LBB51_23
.LBB51_30:
	s_or_b32 exec_lo, exec_lo, s7
.LBB51_31:
	s_delay_alu instid0(SALU_CYCLE_1)
	s_or_b32 exec_lo, exec_lo, s3
.LBB51_32:
	v_mbcnt_lo_u32_b32 v7, -1, 0
	s_mov_b32 s2, exec_lo
	s_barrier
	buffer_gl0_inv
	v_xor_b32_e32 v3, 16, v7
	v_xor_b32_e32 v4, 8, v7
	;; [unrolled: 1-line block ×3, first 2 shown]
	s_delay_alu instid0(VALU_DEP_3) | instskip(SKIP_1) | instid1(VALU_DEP_4)
	v_cmp_gt_i32_e32 vcc_lo, 32, v3
	v_cndmask_b32_e32 v3, v7, v3, vcc_lo
	v_cmp_gt_i32_e32 vcc_lo, 32, v4
	v_cndmask_b32_e32 v4, v7, v4, vcc_lo
	s_delay_alu instid0(VALU_DEP_1) | instskip(NEXT) | instid1(VALU_DEP_4)
	v_lshlrev_b32_e32 v4, 2, v4
	v_lshlrev_b32_e32 v3, 2, v3
	ds_bpermute_b32 v5, v3, v1
	ds_bpermute_b32 v6, v3, v2
	s_waitcnt lgkmcnt(1)
	v_add_co_u32 v1, vcc_lo, v1, v5
	v_add_co_ci_u32_e32 v2, vcc_lo, 0, v2, vcc_lo
	v_xor_b32_e32 v5, 4, v7
	ds_bpermute_b32 v8, v4, v1
	v_add_co_u32 v1, vcc_lo, 0, v1
	s_waitcnt lgkmcnt(1)
	v_add_co_ci_u32_e32 v2, vcc_lo, v6, v2, vcc_lo
	v_cmp_gt_i32_e32 vcc_lo, 32, v5
	ds_bpermute_b32 v6, v4, v2
	v_cndmask_b32_e32 v5, v7, v5, vcc_lo
	s_delay_alu instid0(VALU_DEP_1)
	v_lshlrev_b32_e32 v5, 2, v5
	s_waitcnt lgkmcnt(1)
	v_add_co_u32 v1, vcc_lo, v1, v8
	v_add_co_ci_u32_e32 v2, vcc_lo, 0, v2, vcc_lo
	ds_bpermute_b32 v8, v5, v1
	v_add_co_u32 v1, vcc_lo, v1, 0
	s_waitcnt lgkmcnt(1)
	v_add_co_ci_u32_e32 v2, vcc_lo, v2, v6, vcc_lo
	v_xor_b32_e32 v6, 2, v7
	ds_bpermute_b32 v9, v5, v2
	v_cmp_gt_i32_e32 vcc_lo, 32, v6
	v_cndmask_b32_e32 v6, v7, v6, vcc_lo
	s_delay_alu instid0(VALU_DEP_1)
	v_lshlrev_b32_e32 v6, 2, v6
	s_waitcnt lgkmcnt(1)
	v_add_co_u32 v1, vcc_lo, v1, v8
	v_add_co_ci_u32_e32 v2, vcc_lo, 0, v2, vcc_lo
	ds_bpermute_b32 v8, v6, v1
	v_add_co_u32 v1, vcc_lo, v1, 0
	s_waitcnt lgkmcnt(1)
	v_add_co_ci_u32_e32 v2, vcc_lo, v2, v9, vcc_lo
	v_cmp_gt_i32_e32 vcc_lo, 32, v10
	ds_bpermute_b32 v9, v6, v2
	v_cndmask_b32_e32 v7, v7, v10, vcc_lo
	s_delay_alu instid0(VALU_DEP_1) | instskip(SKIP_3) | instid1(VALU_DEP_2)
	v_lshlrev_b32_e32 v7, 2, v7
	s_waitcnt lgkmcnt(1)
	v_add_co_u32 v1, vcc_lo, v1, v8
	v_add_co_ci_u32_e32 v8, vcc_lo, 0, v2, vcc_lo
	v_add_co_u32 v2, vcc_lo, v1, 0
	s_waitcnt lgkmcnt(0)
	s_delay_alu instid0(VALU_DEP_2)
	v_add_co_ci_u32_e32 v8, vcc_lo, v8, v9, vcc_lo
	ds_bpermute_b32 v9, v7, v1
	ds_bpermute_b32 v1, v7, v8
	v_cmpx_eq_u32_e32 31, v15
	s_cbranch_execz .LBB51_34
; %bb.33:
	s_waitcnt lgkmcnt(1)
	v_add_co_u32 v2, vcc_lo, v2, v9
	v_add_co_ci_u32_e32 v9, vcc_lo, 0, v8, vcc_lo
	v_lshl_add_u32 v10, v14, 3, 0
	s_delay_alu instid0(VALU_DEP_3) | instskip(SKIP_1) | instid1(VALU_DEP_3)
	v_add_co_u32 v8, vcc_lo, v2, 0
	s_waitcnt lgkmcnt(0)
	v_add_co_ci_u32_e32 v9, vcc_lo, v9, v1, vcc_lo
	ds_store_b64 v10, v[8:9]
.LBB51_34:
	s_or_b32 exec_lo, exec_lo, s2
	s_waitcnt lgkmcnt(0)
	v_mov_b32_e32 v1, 0
	v_mov_b32_e32 v2, 0
	s_mov_b32 s2, exec_lo
	s_barrier
	buffer_gl0_inv
	v_cmpx_gt_u32_e32 32, v0
	s_cbranch_execz .LBB51_36
; %bb.35:
	ds_load_b64 v[1:2], v13
.LBB51_36:
	s_or_b32 exec_lo, exec_lo, s2
	s_waitcnt lgkmcnt(0)
	ds_bpermute_b32 v8, v3, v1
	ds_bpermute_b32 v3, v3, v2
	s_mov_b32 s2, exec_lo
	s_waitcnt lgkmcnt(1)
	v_add_co_u32 v1, vcc_lo, v1, v8
	v_add_co_ci_u32_e32 v2, vcc_lo, 0, v2, vcc_lo
	ds_bpermute_b32 v8, v4, v1
	v_add_co_u32 v1, vcc_lo, 0, v1
	s_waitcnt lgkmcnt(1)
	v_add_co_ci_u32_e32 v2, vcc_lo, v3, v2, vcc_lo
	ds_bpermute_b32 v3, v4, v2
	s_waitcnt lgkmcnt(1)
	v_add_co_u32 v1, vcc_lo, v1, v8
	v_add_co_ci_u32_e32 v2, vcc_lo, 0, v2, vcc_lo
	ds_bpermute_b32 v4, v5, v1
	v_add_co_u32 v1, vcc_lo, v1, 0
	s_waitcnt lgkmcnt(1)
	v_add_co_ci_u32_e32 v2, vcc_lo, v2, v3, vcc_lo
	ds_bpermute_b32 v3, v5, v2
	;; [unrolled: 8-line block ×3, first 2 shown]
	s_waitcnt lgkmcnt(1)
	v_add_co_u32 v1, vcc_lo, v1, v4
	v_add_co_ci_u32_e32 v4, vcc_lo, 0, v2, vcc_lo
	s_delay_alu instid0(VALU_DEP_2) | instskip(SKIP_1) | instid1(VALU_DEP_2)
	v_add_co_u32 v2, vcc_lo, v1, 0
	s_waitcnt lgkmcnt(0)
	v_add_co_ci_u32_e32 v3, vcc_lo, v4, v3, vcc_lo
	ds_bpermute_b32 v4, v7, v1
	ds_bpermute_b32 v1, v7, v3
	v_cmpx_eq_u32_e32 31, v0
	s_cbranch_execz .LBB51_38
; %bb.37:
	s_load_b64 s[0:1], s[0:1], 0x40
	s_waitcnt lgkmcnt(0)
	v_add_co_u32 v0, vcc_lo, v2, v4
	v_add_co_ci_u32_e32 v2, vcc_lo, 0, v3, vcc_lo
	s_lshl_b64 s[2:3], s[12:13], 3
	s_delay_alu instid0(VALU_DEP_2) | instskip(SKIP_1) | instid1(VALU_DEP_3)
	v_add_co_u32 v0, vcc_lo, v0, 0
	v_mov_b32_e32 v3, 0
	v_add_co_ci_u32_e32 v1, vcc_lo, v2, v1, vcc_lo
	s_add_u32 s0, s0, s2
	s_addc_u32 s1, s1, s3
	global_store_b64 v3, v[0:1], s[0:1]
.LBB51_38:
	s_nop 0
	s_sendmsg sendmsg(MSG_DEALLOC_VGPRS)
	s_endpgm
	.section	.rodata,"a",@progbits
	.p2align	6, 0x0
	.amdhsa_kernel _ZN9rocsparseL25csrgemm_nnz_block_per_rowILj1024ELj32ELj8192ELj79EllEEvPKT4_S3_PKT3_S3_S6_S3_S6_S3_PS4_21rocsparse_index_base_S8_S8_bb
		.amdhsa_group_segment_fixed_size 0
		.amdhsa_private_segment_fixed_size 0
		.amdhsa_kernarg_size 88
		.amdhsa_user_sgpr_count 15
		.amdhsa_user_sgpr_dispatch_ptr 0
		.amdhsa_user_sgpr_queue_ptr 0
		.amdhsa_user_sgpr_kernarg_segment_ptr 1
		.amdhsa_user_sgpr_dispatch_id 0
		.amdhsa_user_sgpr_private_segment_size 0
		.amdhsa_wavefront_size32 1
		.amdhsa_uses_dynamic_stack 0
		.amdhsa_enable_private_segment 0
		.amdhsa_system_sgpr_workgroup_id_x 1
		.amdhsa_system_sgpr_workgroup_id_y 0
		.amdhsa_system_sgpr_workgroup_id_z 0
		.amdhsa_system_sgpr_workgroup_info 0
		.amdhsa_system_vgpr_workitem_id 0
		.amdhsa_next_free_vgpr 20
		.amdhsa_next_free_sgpr 29
		.amdhsa_reserve_vcc 1
		.amdhsa_float_round_mode_32 0
		.amdhsa_float_round_mode_16_64 0
		.amdhsa_float_denorm_mode_32 3
		.amdhsa_float_denorm_mode_16_64 3
		.amdhsa_dx10_clamp 1
		.amdhsa_ieee_mode 1
		.amdhsa_fp16_overflow 0
		.amdhsa_workgroup_processor_mode 1
		.amdhsa_memory_ordered 1
		.amdhsa_forward_progress 0
		.amdhsa_shared_vgpr_count 0
		.amdhsa_exception_fp_ieee_invalid_op 0
		.amdhsa_exception_fp_denorm_src 0
		.amdhsa_exception_fp_ieee_div_zero 0
		.amdhsa_exception_fp_ieee_overflow 0
		.amdhsa_exception_fp_ieee_underflow 0
		.amdhsa_exception_fp_ieee_inexact 0
		.amdhsa_exception_int_div_zero 0
	.end_amdhsa_kernel
	.section	.text._ZN9rocsparseL25csrgemm_nnz_block_per_rowILj1024ELj32ELj8192ELj79EllEEvPKT4_S3_PKT3_S3_S6_S3_S6_S3_PS4_21rocsparse_index_base_S8_S8_bb,"axG",@progbits,_ZN9rocsparseL25csrgemm_nnz_block_per_rowILj1024ELj32ELj8192ELj79EllEEvPKT4_S3_PKT3_S3_S6_S3_S6_S3_PS4_21rocsparse_index_base_S8_S8_bb,comdat
.Lfunc_end51:
	.size	_ZN9rocsparseL25csrgemm_nnz_block_per_rowILj1024ELj32ELj8192ELj79EllEEvPKT4_S3_PKT3_S3_S6_S3_S6_S3_PS4_21rocsparse_index_base_S8_S8_bb, .Lfunc_end51-_ZN9rocsparseL25csrgemm_nnz_block_per_rowILj1024ELj32ELj8192ELj79EllEEvPKT4_S3_PKT3_S3_S6_S3_S6_S3_PS4_21rocsparse_index_base_S8_S8_bb
                                        ; -- End function
	.section	.AMDGPU.csdata,"",@progbits
; Kernel info:
; codeLenInByte = 2220
; NumSgprs: 31
; NumVgprs: 20
; ScratchSize: 0
; MemoryBound: 0
; FloatMode: 240
; IeeeMode: 1
; LDSByteSize: 0 bytes/workgroup (compile time only)
; SGPRBlocks: 3
; VGPRBlocks: 2
; NumSGPRsForWavesPerEU: 31
; NumVGPRsForWavesPerEU: 20
; Occupancy: 16
; WaveLimiterHint : 1
; COMPUTE_PGM_RSRC2:SCRATCH_EN: 0
; COMPUTE_PGM_RSRC2:USER_SGPR: 15
; COMPUTE_PGM_RSRC2:TRAP_HANDLER: 0
; COMPUTE_PGM_RSRC2:TGID_X_EN: 1
; COMPUTE_PGM_RSRC2:TGID_Y_EN: 0
; COMPUTE_PGM_RSRC2:TGID_Z_EN: 0
; COMPUTE_PGM_RSRC2:TIDIG_COMP_CNT: 0
	.section	.text._ZN9rocsparseL25csrgemm_nnz_block_per_rowILj1024ELj32ELj16384ELj79EllEEvPKT4_S3_PKT3_S3_S6_S3_S6_S3_PS4_21rocsparse_index_base_S8_S8_bb,"axG",@progbits,_ZN9rocsparseL25csrgemm_nnz_block_per_rowILj1024ELj32ELj16384ELj79EllEEvPKT4_S3_PKT3_S3_S6_S3_S6_S3_PS4_21rocsparse_index_base_S8_S8_bb,comdat
	.globl	_ZN9rocsparseL25csrgemm_nnz_block_per_rowILj1024ELj32ELj16384ELj79EllEEvPKT4_S3_PKT3_S3_S6_S3_S6_S3_PS4_21rocsparse_index_base_S8_S8_bb ; -- Begin function _ZN9rocsparseL25csrgemm_nnz_block_per_rowILj1024ELj32ELj16384ELj79EllEEvPKT4_S3_PKT3_S3_S6_S3_S6_S3_PS4_21rocsparse_index_base_S8_S8_bb
	.p2align	8
	.type	_ZN9rocsparseL25csrgemm_nnz_block_per_rowILj1024ELj32ELj16384ELj79EllEEvPKT4_S3_PKT3_S3_S6_S3_S6_S3_PS4_21rocsparse_index_base_S8_S8_bb,@function
_ZN9rocsparseL25csrgemm_nnz_block_per_rowILj1024ELj32ELj16384ELj79EllEEvPKT4_S3_PKT3_S3_S6_S3_S6_S3_PS4_21rocsparse_index_base_S8_S8_bb: ; @_ZN9rocsparseL25csrgemm_nnz_block_per_rowILj1024ELj32ELj16384ELj79EllEEvPKT4_S3_PKT3_S3_S6_S3_S6_S3_PS4_21rocsparse_index_base_S8_S8_bb
; %bb.0:
	s_mov_b32 s2, s15
	s_load_b256 s[8:15], s[0:1], 0x0
	s_mov_b32 s3, 0
	s_load_b64 s[20:21], s[0:1], 0x40
	v_mov_b32_e32 v1, -1
	v_or_b32_e32 v3, 0xfffffc00, v0
	v_lshl_add_u32 v4, v0, 3, 0
	s_delay_alu instid0(VALU_DEP_3) | instskip(SKIP_4) | instid1(SALU_CYCLE_1)
	v_mov_b32_e32 v2, v1
	s_waitcnt lgkmcnt(0)
	s_load_b64 s[4:5], s[8:9], 0x0
	s_waitcnt lgkmcnt(0)
	s_lshl_b64 s[4:5], s[4:5], 3
	s_add_u32 s6, s10, s4
	s_addc_u32 s7, s11, s5
	s_lshl_b64 s[4:5], s[2:3], 3
	s_delay_alu instid0(SALU_CYCLE_1)
	s_add_u32 s16, s6, s4
	s_addc_u32 s17, s7, s5
	s_load_b256 s[4:11], s[0:1], 0x20
	s_load_b64 s[22:23], s[16:17], 0x0
.LBB52_1:                               ; =>This Inner Loop Header: Depth=1
	v_add_nc_u32_e32 v3, 0x400, v3
	ds_store_b64 v4, v[1:2]
	v_add_nc_u32_e32 v4, 0x2000, v4
	v_cmp_lt_u32_e32 vcc_lo, 0x3bff, v3
	s_or_b32 s3, vcc_lo, s3
	s_delay_alu instid0(SALU_CYCLE_1)
	s_and_not1_b32 exec_lo, exec_lo, s3
	s_cbranch_execnz .LBB52_1
; %bb.2:
	s_or_b32 exec_lo, exec_lo, s3
	s_load_b128 s[16:19], s[0:1], 0x48
	v_dual_mov_b32 v1, 0 :: v_dual_and_b32 v14, 31, v0
	v_lshrrev_b32_e32 v13, 5, v0
	v_mov_b32_e32 v2, 0
	s_waitcnt lgkmcnt(0)
	s_barrier
	buffer_gl0_inv
	s_bitcmp1_b32 s19, 0
	s_cselect_b32 s2, -1, 0
	s_delay_alu instid0(SALU_CYCLE_1)
	s_and_b32 vcc_lo, exec_lo, s2
	s_cbranch_vccz .LBB52_20
; %bb.3:
	s_lshl_b64 s[2:3], s[22:23], 3
	s_mov_b32 s19, 0
	s_add_u32 s2, s12, s2
	s_addc_u32 s3, s13, s3
	s_load_b128 s[24:27], s[2:3], 0x0
	v_sub_co_u32 v1, s2, v13, s16
	s_delay_alu instid0(VALU_DEP_1) | instskip(SKIP_2) | instid1(VALU_DEP_2)
	v_sub_co_ci_u32_e64 v2, null, 0, 0, s2
	s_mov_b32 s3, exec_lo
	s_waitcnt lgkmcnt(0)
	v_add_co_u32 v3, vcc_lo, v1, s24
	s_delay_alu instid0(VALU_DEP_2) | instskip(SKIP_4) | instid1(SALU_CYCLE_1)
	v_add_co_ci_u32_e32 v4, vcc_lo, s25, v2, vcc_lo
	v_mov_b32_e32 v1, 0
	v_mov_b32_e32 v2, 0
	s_sub_u32 s12, s26, s16
	s_subb_u32 s13, s27, 0
	v_cmpx_gt_i64_e64 s[12:13], v[3:4]
	s_cbranch_execz .LBB52_19
; %bb.4:
	v_sub_co_u32 v15, s2, v14, s17
	v_mov_b32_e32 v1, 0
	v_mov_b32_e32 v2, 0
	v_sub_co_ci_u32_e64 v16, null, 0, 0, s2
	s_branch .LBB52_7
.LBB52_5:                               ;   in Loop: Header=BB52_7 Depth=1
	s_or_b32 exec_lo, exec_lo, s25
.LBB52_6:                               ;   in Loop: Header=BB52_7 Depth=1
	s_delay_alu instid0(SALU_CYCLE_1) | instskip(SKIP_2) | instid1(VALU_DEP_1)
	s_or_b32 exec_lo, exec_lo, s24
	v_add_co_u32 v3, vcc_lo, v3, 32
	v_add_co_ci_u32_e32 v4, vcc_lo, 0, v4, vcc_lo
	v_cmp_le_i64_e32 vcc_lo, s[12:13], v[3:4]
	s_or_b32 s19, vcc_lo, s19
	s_delay_alu instid0(SALU_CYCLE_1)
	s_and_not1_b32 exec_lo, exec_lo, s19
	s_cbranch_execz .LBB52_18
.LBB52_7:                               ; =>This Loop Header: Depth=1
                                        ;     Child Loop BB52_10 Depth 2
                                        ;       Child Loop BB52_13 Depth 3
	v_lshlrev_b64 v[5:6], 3, v[3:4]
	s_mov_b32 s24, exec_lo
	s_delay_alu instid0(VALU_DEP_1) | instskip(NEXT) | instid1(VALU_DEP_2)
	v_add_co_u32 v5, vcc_lo, s14, v5
	v_add_co_ci_u32_e32 v6, vcc_lo, s15, v6, vcc_lo
	global_load_b64 v[5:6], v[5:6], off
	s_waitcnt vmcnt(0)
	v_sub_co_u32 v5, vcc_lo, v5, s16
	v_subrev_co_ci_u32_e32 v6, vcc_lo, 0, v6, vcc_lo
	s_delay_alu instid0(VALU_DEP_1) | instskip(NEXT) | instid1(VALU_DEP_1)
	v_lshlrev_b64 v[5:6], 3, v[5:6]
	v_add_co_u32 v5, vcc_lo, s4, v5
	s_delay_alu instid0(VALU_DEP_2)
	v_add_co_ci_u32_e32 v6, vcc_lo, s5, v6, vcc_lo
	global_load_b128 v[7:10], v[5:6], off
	s_waitcnt vmcnt(0)
	v_sub_co_u32 v5, vcc_lo, v9, s17
	v_subrev_co_ci_u32_e32 v6, vcc_lo, 0, v10, vcc_lo
	v_add_co_u32 v7, vcc_lo, v15, v7
	v_add_co_ci_u32_e32 v8, vcc_lo, v16, v8, vcc_lo
	s_delay_alu instid0(VALU_DEP_1)
	v_cmpx_lt_i64_e64 v[7:8], v[5:6]
	s_cbranch_execz .LBB52_6
; %bb.8:                                ;   in Loop: Header=BB52_7 Depth=1
	s_mov_b32 s25, 0
	s_branch .LBB52_10
.LBB52_9:                               ;   in Loop: Header=BB52_10 Depth=2
	s_or_b32 exec_lo, exec_lo, s27
	v_add_co_u32 v7, vcc_lo, v7, 32
	v_add_co_ci_u32_e32 v8, vcc_lo, 0, v8, vcc_lo
	v_cndmask_b32_e64 v9, 0, 1, s26
	s_delay_alu instid0(VALU_DEP_2) | instskip(NEXT) | instid1(VALU_DEP_2)
	v_cmp_ge_i64_e32 vcc_lo, v[7:8], v[5:6]
	v_add_co_u32 v1, s2, v1, v9
	s_delay_alu instid0(VALU_DEP_1) | instskip(SKIP_1) | instid1(SALU_CYCLE_1)
	v_add_co_ci_u32_e64 v2, s2, 0, v2, s2
	s_or_b32 s25, vcc_lo, s25
	s_and_not1_b32 exec_lo, exec_lo, s25
	s_cbranch_execz .LBB52_5
.LBB52_10:                              ;   Parent Loop BB52_7 Depth=1
                                        ; =>  This Loop Header: Depth=2
                                        ;       Child Loop BB52_13 Depth 3
	v_lshlrev_b64 v[9:10], 3, v[7:8]
	s_mov_b32 s27, 0
                                        ; implicit-def: $sgpr26
                                        ; implicit-def: $sgpr28
                                        ; implicit-def: $sgpr29
                                        ; implicit-def: $sgpr30
	s_delay_alu instid0(VALU_DEP_1) | instskip(NEXT) | instid1(VALU_DEP_2)
	v_add_co_u32 v9, vcc_lo, s6, v9
	v_add_co_ci_u32_e32 v10, vcc_lo, s7, v10, vcc_lo
	global_load_b64 v[9:10], v[9:10], off
	s_waitcnt vmcnt(0)
	v_sub_co_u32 v9, vcc_lo, v9, s17
	v_subrev_co_ci_u32_e32 v10, vcc_lo, 0, v10, vcc_lo
	s_delay_alu instid0(VALU_DEP_2) | instskip(NEXT) | instid1(VALU_DEP_1)
	v_mul_lo_u32 v11, 0x4f, v9
	v_and_b32_e32 v17, 0x3fff, v11
	s_branch .LBB52_13
.LBB52_11:                              ;   in Loop: Header=BB52_13 Depth=3
	s_or_b32 exec_lo, exec_lo, s35
	s_delay_alu instid0(SALU_CYCLE_1)
	s_and_not1_b32 s2, s29, exec_lo
	s_and_b32 s29, s34, exec_lo
	s_and_not1_b32 s28, s28, exec_lo
	s_and_b32 s30, s33, exec_lo
	s_or_b32 s29, s2, s29
	s_or_b32 s28, s28, s30
                                        ; implicit-def: $sgpr30
.LBB52_12:                              ;   in Loop: Header=BB52_13 Depth=3
	s_or_b32 exec_lo, exec_lo, s31
	s_xor_b32 s2, s28, -1
	s_delay_alu instid0(SALU_CYCLE_1) | instskip(NEXT) | instid1(SALU_CYCLE_1)
	s_and_b32 s2, exec_lo, s2
	s_or_b32 s27, s2, s27
	s_and_not1_b32 s2, s30, exec_lo
	s_and_b32 s31, s29, exec_lo
	s_and_not1_b32 s26, s26, exec_lo
	s_or_b32 s30, s2, s31
	s_or_b32 s26, s26, s31
	s_and_not1_b32 exec_lo, exec_lo, s27
	s_cbranch_execz .LBB52_9
.LBB52_13:                              ;   Parent Loop BB52_7 Depth=1
                                        ;     Parent Loop BB52_10 Depth=2
                                        ; =>    This Inner Loop Header: Depth=3
	s_delay_alu instid0(VALU_DEP_1)
	v_lshl_add_u32 v18, v17, 3, 0
	s_and_not1_b32 s29, s29, exec_lo
	s_and_not1_b32 s28, s28, exec_lo
	s_mov_b32 s31, exec_lo
	ds_load_b64 v[11:12], v18
	s_waitcnt lgkmcnt(0)
	v_cmpx_ne_u64_e64 v[11:12], v[9:10]
	s_cbranch_execz .LBB52_12
; %bb.14:                               ;   in Loop: Header=BB52_13 Depth=3
	s_mov_b32 s2, exec_lo
                                        ; implicit-def: $sgpr34
                                        ; implicit-def: $sgpr33
	v_cmpx_ne_u64_e32 -1, v[11:12]
	s_xor_b32 s2, exec_lo, s2
; %bb.15:                               ;   in Loop: Header=BB52_13 Depth=3
	v_add_nc_u32_e32 v11, 1, v17
	s_mov_b32 s33, -1
	s_and_b32 s34, s30, exec_lo
                                        ; implicit-def: $vgpr18
	s_delay_alu instid0(VALU_DEP_1)
	v_and_b32_e32 v17, 0x3fff, v11
; %bb.16:                               ;   in Loop: Header=BB52_13 Depth=3
	s_and_not1_saveexec_b32 s35, s2
	s_cbranch_execz .LBB52_11
; %bb.17:                               ;   in Loop: Header=BB52_13 Depth=3
	v_mov_b32_e32 v11, -1
	v_mov_b32_e32 v12, -1
	s_and_not1_b32 s33, s33, exec_lo
	s_and_not1_b32 s34, s34, exec_lo
	ds_cmpstore_rtn_b64 v[11:12], v18, v[9:10], v[11:12]
	s_waitcnt lgkmcnt(0)
	v_cmp_eq_u64_e32 vcc_lo, -1, v[11:12]
	v_cmp_ne_u64_e64 s2, -1, v[11:12]
	s_or_b32 s30, vcc_lo, s30
	s_delay_alu instid0(VALU_DEP_1)
	s_and_b32 s2, s2, exec_lo
	s_and_b32 s30, s30, exec_lo
	s_or_b32 s33, s33, s2
	s_or_b32 s34, s34, s30
	s_branch .LBB52_11
.LBB52_18:
	s_or_b32 exec_lo, exec_lo, s19
.LBB52_19:
	s_delay_alu instid0(SALU_CYCLE_1)
	s_or_b32 exec_lo, exec_lo, s3
.LBB52_20:
	s_load_b32 s0, s[0:1], 0x54
	s_waitcnt lgkmcnt(0)
	s_bfe_u32 s0, s0, 0x10008
	s_delay_alu instid0(SALU_CYCLE_1)
	s_cmp_eq_u32 s0, 0
	s_cbranch_scc1 .LBB52_34
; %bb.21:
	s_lshl_b64 s[0:1], s[22:23], 3
	v_sub_co_u32 v3, s4, v13, s18
	s_add_u32 s0, s8, s0
	s_addc_u32 s1, s9, s1
	v_sub_co_ci_u32_e64 v4, null, 0, 0, s4
	s_load_b128 s[0:3], s[0:1], 0x0
	s_waitcnt lgkmcnt(0)
	v_add_co_u32 v3, vcc_lo, v3, s0
	s_delay_alu instid0(VALU_DEP_2) | instskip(SKIP_3) | instid1(VALU_DEP_1)
	v_add_co_ci_u32_e32 v4, vcc_lo, s1, v4, vcc_lo
	s_sub_u32 s2, s2, s18
	s_subb_u32 s3, s3, 0
	s_mov_b32 s1, exec_lo
	v_cmpx_gt_i64_e64 s[2:3], v[3:4]
	s_cbranch_execz .LBB52_33
; %bb.22:
	s_mov_b32 s4, 0
	s_branch .LBB52_24
.LBB52_23:                              ;   in Loop: Header=BB52_24 Depth=1
	s_or_b32 exec_lo, exec_lo, s6
	v_add_co_u32 v3, vcc_lo, v3, 32
	v_add_co_ci_u32_e32 v4, vcc_lo, 0, v4, vcc_lo
	v_cndmask_b32_e64 v5, 0, 1, s5
	s_delay_alu instid0(VALU_DEP_2) | instskip(NEXT) | instid1(VALU_DEP_2)
	v_cmp_le_i64_e32 vcc_lo, s[2:3], v[3:4]
	v_add_co_u32 v1, s0, v1, v5
	s_delay_alu instid0(VALU_DEP_1) | instskip(SKIP_1) | instid1(SALU_CYCLE_1)
	v_add_co_ci_u32_e64 v2, s0, 0, v2, s0
	s_or_b32 s4, vcc_lo, s4
	s_and_not1_b32 exec_lo, exec_lo, s4
	s_cbranch_execz .LBB52_32
.LBB52_24:                              ; =>This Loop Header: Depth=1
                                        ;     Child Loop BB52_27 Depth 2
	v_lshlrev_b64 v[5:6], 3, v[3:4]
	s_mov_b32 s6, 0
                                        ; implicit-def: $sgpr5
                                        ; implicit-def: $sgpr7
                                        ; implicit-def: $sgpr8
                                        ; implicit-def: $sgpr9
	s_delay_alu instid0(VALU_DEP_1) | instskip(NEXT) | instid1(VALU_DEP_2)
	v_add_co_u32 v5, vcc_lo, s10, v5
	v_add_co_ci_u32_e32 v6, vcc_lo, s11, v6, vcc_lo
	global_load_b64 v[5:6], v[5:6], off
	s_waitcnt vmcnt(0)
	v_sub_co_u32 v5, vcc_lo, v5, s18
	v_subrev_co_ci_u32_e32 v6, vcc_lo, 0, v6, vcc_lo
	s_delay_alu instid0(VALU_DEP_2) | instskip(NEXT) | instid1(VALU_DEP_1)
	v_mul_lo_u32 v7, 0x4f, v5
	v_and_b32_e32 v9, 0x3fff, v7
	s_branch .LBB52_27
.LBB52_25:                              ;   in Loop: Header=BB52_27 Depth=2
	s_or_b32 exec_lo, exec_lo, s15
	s_delay_alu instid0(SALU_CYCLE_1)
	s_and_not1_b32 s0, s8, exec_lo
	s_and_b32 s8, s14, exec_lo
	s_and_not1_b32 s7, s7, exec_lo
	s_and_b32 s9, s13, exec_lo
	s_or_b32 s8, s0, s8
	s_or_b32 s7, s7, s9
                                        ; implicit-def: $sgpr9
.LBB52_26:                              ;   in Loop: Header=BB52_27 Depth=2
	s_or_b32 exec_lo, exec_lo, s12
	s_xor_b32 s0, s7, -1
	s_delay_alu instid0(SALU_CYCLE_1) | instskip(NEXT) | instid1(SALU_CYCLE_1)
	s_and_b32 s0, exec_lo, s0
	s_or_b32 s6, s0, s6
	s_and_not1_b32 s0, s9, exec_lo
	s_and_b32 s12, s8, exec_lo
	s_and_not1_b32 s5, s5, exec_lo
	s_or_b32 s9, s0, s12
	s_or_b32 s5, s5, s12
	s_and_not1_b32 exec_lo, exec_lo, s6
	s_cbranch_execz .LBB52_23
.LBB52_27:                              ;   Parent Loop BB52_24 Depth=1
                                        ; =>  This Inner Loop Header: Depth=2
	s_delay_alu instid0(VALU_DEP_1)
	v_lshl_add_u32 v10, v9, 3, 0
	s_and_not1_b32 s8, s8, exec_lo
	s_and_not1_b32 s7, s7, exec_lo
	s_mov_b32 s12, exec_lo
	ds_load_b64 v[7:8], v10
	s_waitcnt lgkmcnt(0)
	v_cmpx_ne_u64_e64 v[7:8], v[5:6]
	s_cbranch_execz .LBB52_26
; %bb.28:                               ;   in Loop: Header=BB52_27 Depth=2
	s_mov_b32 s0, exec_lo
                                        ; implicit-def: $sgpr14
                                        ; implicit-def: $sgpr13
	v_cmpx_ne_u64_e32 -1, v[7:8]
	s_xor_b32 s0, exec_lo, s0
; %bb.29:                               ;   in Loop: Header=BB52_27 Depth=2
	v_add_nc_u32_e32 v7, 1, v9
	s_mov_b32 s13, -1
	s_and_b32 s14, s9, exec_lo
                                        ; implicit-def: $vgpr10
	s_delay_alu instid0(VALU_DEP_1)
	v_and_b32_e32 v9, 0x3fff, v7
; %bb.30:                               ;   in Loop: Header=BB52_27 Depth=2
	s_and_not1_saveexec_b32 s15, s0
	s_cbranch_execz .LBB52_25
; %bb.31:                               ;   in Loop: Header=BB52_27 Depth=2
	v_mov_b32_e32 v7, -1
	v_mov_b32_e32 v8, -1
	s_and_not1_b32 s13, s13, exec_lo
	s_and_not1_b32 s14, s14, exec_lo
	ds_cmpstore_rtn_b64 v[7:8], v10, v[5:6], v[7:8]
	s_waitcnt lgkmcnt(0)
	v_cmp_eq_u64_e32 vcc_lo, -1, v[7:8]
	v_cmp_ne_u64_e64 s0, -1, v[7:8]
	s_or_b32 s9, vcc_lo, s9
	s_delay_alu instid0(VALU_DEP_1)
	s_and_b32 s0, s0, exec_lo
	s_and_b32 s9, s9, exec_lo
	s_or_b32 s13, s13, s0
	s_or_b32 s14, s14, s9
	s_branch .LBB52_25
.LBB52_32:
	s_or_b32 exec_lo, exec_lo, s4
.LBB52_33:
	s_delay_alu instid0(SALU_CYCLE_1)
	s_or_b32 exec_lo, exec_lo, s1
.LBB52_34:
	v_mbcnt_lo_u32_b32 v7, -1, 0
	s_mov_b32 s0, exec_lo
	s_barrier
	buffer_gl0_inv
	v_xor_b32_e32 v3, 16, v7
	v_xor_b32_e32 v4, 8, v7
	;; [unrolled: 1-line block ×3, first 2 shown]
	s_delay_alu instid0(VALU_DEP_3) | instskip(SKIP_1) | instid1(VALU_DEP_4)
	v_cmp_gt_i32_e32 vcc_lo, 32, v3
	v_cndmask_b32_e32 v3, v7, v3, vcc_lo
	v_cmp_gt_i32_e32 vcc_lo, 32, v4
	v_cndmask_b32_e32 v4, v7, v4, vcc_lo
	s_delay_alu instid0(VALU_DEP_1) | instskip(NEXT) | instid1(VALU_DEP_4)
	v_lshlrev_b32_e32 v4, 2, v4
	v_lshlrev_b32_e32 v3, 2, v3
	ds_bpermute_b32 v5, v3, v1
	ds_bpermute_b32 v6, v3, v2
	s_waitcnt lgkmcnt(1)
	v_add_co_u32 v1, vcc_lo, v1, v5
	v_add_co_ci_u32_e32 v2, vcc_lo, 0, v2, vcc_lo
	v_xor_b32_e32 v5, 4, v7
	ds_bpermute_b32 v8, v4, v1
	v_add_co_u32 v1, vcc_lo, 0, v1
	s_waitcnt lgkmcnt(1)
	v_add_co_ci_u32_e32 v2, vcc_lo, v6, v2, vcc_lo
	v_cmp_gt_i32_e32 vcc_lo, 32, v5
	ds_bpermute_b32 v6, v4, v2
	v_cndmask_b32_e32 v5, v7, v5, vcc_lo
	s_delay_alu instid0(VALU_DEP_1)
	v_lshlrev_b32_e32 v5, 2, v5
	s_waitcnt lgkmcnt(1)
	v_add_co_u32 v1, vcc_lo, v1, v8
	v_add_co_ci_u32_e32 v2, vcc_lo, 0, v2, vcc_lo
	ds_bpermute_b32 v8, v5, v1
	v_add_co_u32 v1, vcc_lo, v1, 0
	s_waitcnt lgkmcnt(1)
	v_add_co_ci_u32_e32 v2, vcc_lo, v2, v6, vcc_lo
	v_xor_b32_e32 v6, 2, v7
	ds_bpermute_b32 v9, v5, v2
	v_cmp_gt_i32_e32 vcc_lo, 32, v6
	v_cndmask_b32_e32 v6, v7, v6, vcc_lo
	s_delay_alu instid0(VALU_DEP_1)
	v_lshlrev_b32_e32 v6, 2, v6
	s_waitcnt lgkmcnt(1)
	v_add_co_u32 v1, vcc_lo, v1, v8
	v_add_co_ci_u32_e32 v2, vcc_lo, 0, v2, vcc_lo
	ds_bpermute_b32 v8, v6, v1
	v_add_co_u32 v1, vcc_lo, v1, 0
	s_waitcnt lgkmcnt(1)
	v_add_co_ci_u32_e32 v2, vcc_lo, v2, v9, vcc_lo
	v_cmp_gt_i32_e32 vcc_lo, 32, v10
	ds_bpermute_b32 v9, v6, v2
	v_cndmask_b32_e32 v7, v7, v10, vcc_lo
	s_delay_alu instid0(VALU_DEP_1) | instskip(SKIP_3) | instid1(VALU_DEP_2)
	v_lshlrev_b32_e32 v7, 2, v7
	s_waitcnt lgkmcnt(1)
	v_add_co_u32 v1, vcc_lo, v1, v8
	v_add_co_ci_u32_e32 v8, vcc_lo, 0, v2, vcc_lo
	v_add_co_u32 v2, vcc_lo, v1, 0
	s_waitcnt lgkmcnt(0)
	s_delay_alu instid0(VALU_DEP_2)
	v_add_co_ci_u32_e32 v8, vcc_lo, v8, v9, vcc_lo
	ds_bpermute_b32 v9, v7, v1
	ds_bpermute_b32 v1, v7, v8
	v_cmpx_eq_u32_e32 31, v14
	s_cbranch_execz .LBB52_36
; %bb.35:
	s_waitcnt lgkmcnt(1)
	v_add_co_u32 v2, vcc_lo, v2, v9
	v_add_co_ci_u32_e32 v9, vcc_lo, 0, v8, vcc_lo
	v_lshl_add_u32 v10, v13, 3, 0
	s_delay_alu instid0(VALU_DEP_3) | instskip(SKIP_1) | instid1(VALU_DEP_3)
	v_add_co_u32 v8, vcc_lo, v2, 0
	s_waitcnt lgkmcnt(0)
	v_add_co_ci_u32_e32 v9, vcc_lo, v9, v1, vcc_lo
	ds_store_b64 v10, v[8:9]
.LBB52_36:
	s_or_b32 exec_lo, exec_lo, s0
	s_waitcnt lgkmcnt(0)
	v_mov_b32_e32 v1, 0
	v_mov_b32_e32 v2, 0
	s_mov_b32 s0, exec_lo
	s_barrier
	buffer_gl0_inv
	v_cmpx_gt_u32_e32 32, v0
	s_cbranch_execz .LBB52_38
; %bb.37:
	v_lshl_add_u32 v1, v0, 3, 0
	ds_load_b64 v[1:2], v1
.LBB52_38:
	s_or_b32 exec_lo, exec_lo, s0
	s_waitcnt lgkmcnt(0)
	ds_bpermute_b32 v8, v3, v1
	ds_bpermute_b32 v3, v3, v2
	s_mov_b32 s0, exec_lo
	s_waitcnt lgkmcnt(1)
	v_add_co_u32 v1, vcc_lo, v1, v8
	v_add_co_ci_u32_e32 v2, vcc_lo, 0, v2, vcc_lo
	ds_bpermute_b32 v8, v4, v1
	v_add_co_u32 v1, vcc_lo, 0, v1
	s_waitcnt lgkmcnt(1)
	v_add_co_ci_u32_e32 v2, vcc_lo, v3, v2, vcc_lo
	ds_bpermute_b32 v3, v4, v2
	s_waitcnt lgkmcnt(1)
	v_add_co_u32 v1, vcc_lo, v1, v8
	v_add_co_ci_u32_e32 v2, vcc_lo, 0, v2, vcc_lo
	ds_bpermute_b32 v4, v5, v1
	v_add_co_u32 v1, vcc_lo, v1, 0
	s_waitcnt lgkmcnt(1)
	v_add_co_ci_u32_e32 v2, vcc_lo, v2, v3, vcc_lo
	ds_bpermute_b32 v3, v5, v2
	;; [unrolled: 8-line block ×3, first 2 shown]
	s_waitcnt lgkmcnt(1)
	v_add_co_u32 v1, vcc_lo, v1, v4
	v_add_co_ci_u32_e32 v4, vcc_lo, 0, v2, vcc_lo
	s_delay_alu instid0(VALU_DEP_2) | instskip(SKIP_1) | instid1(VALU_DEP_2)
	v_add_co_u32 v2, vcc_lo, v1, 0
	s_waitcnt lgkmcnt(0)
	v_add_co_ci_u32_e32 v3, vcc_lo, v4, v3, vcc_lo
	ds_bpermute_b32 v4, v7, v1
	ds_bpermute_b32 v1, v7, v3
	v_cmpx_eq_u32_e32 31, v0
	s_cbranch_execz .LBB52_40
; %bb.39:
	s_waitcnt lgkmcnt(1)
	v_add_co_u32 v0, vcc_lo, v2, v4
	v_add_co_ci_u32_e32 v2, vcc_lo, 0, v3, vcc_lo
	s_lshl_b64 s[0:1], s[22:23], 3
	s_delay_alu instid0(VALU_DEP_2)
	v_add_co_u32 v0, vcc_lo, v0, 0
	v_mov_b32_e32 v3, 0
	s_waitcnt lgkmcnt(0)
	v_add_co_ci_u32_e32 v1, vcc_lo, v2, v1, vcc_lo
	s_add_u32 s0, s20, s0
	s_addc_u32 s1, s21, s1
	global_store_b64 v3, v[0:1], s[0:1]
.LBB52_40:
	s_nop 0
	s_sendmsg sendmsg(MSG_DEALLOC_VGPRS)
	s_endpgm
	.section	.rodata,"a",@progbits
	.p2align	6, 0x0
	.amdhsa_kernel _ZN9rocsparseL25csrgemm_nnz_block_per_rowILj1024ELj32ELj16384ELj79EllEEvPKT4_S3_PKT3_S3_S6_S3_S6_S3_PS4_21rocsparse_index_base_S8_S8_bb
		.amdhsa_group_segment_fixed_size 0
		.amdhsa_private_segment_fixed_size 0
		.amdhsa_kernarg_size 88
		.amdhsa_user_sgpr_count 15
		.amdhsa_user_sgpr_dispatch_ptr 0
		.amdhsa_user_sgpr_queue_ptr 0
		.amdhsa_user_sgpr_kernarg_segment_ptr 1
		.amdhsa_user_sgpr_dispatch_id 0
		.amdhsa_user_sgpr_private_segment_size 0
		.amdhsa_wavefront_size32 1
		.amdhsa_uses_dynamic_stack 0
		.amdhsa_enable_private_segment 0
		.amdhsa_system_sgpr_workgroup_id_x 1
		.amdhsa_system_sgpr_workgroup_id_y 0
		.amdhsa_system_sgpr_workgroup_id_z 0
		.amdhsa_system_sgpr_workgroup_info 0
		.amdhsa_system_vgpr_workitem_id 0
		.amdhsa_next_free_vgpr 19
		.amdhsa_next_free_sgpr 36
		.amdhsa_reserve_vcc 1
		.amdhsa_float_round_mode_32 0
		.amdhsa_float_round_mode_16_64 0
		.amdhsa_float_denorm_mode_32 3
		.amdhsa_float_denorm_mode_16_64 3
		.amdhsa_dx10_clamp 1
		.amdhsa_ieee_mode 1
		.amdhsa_fp16_overflow 0
		.amdhsa_workgroup_processor_mode 1
		.amdhsa_memory_ordered 1
		.amdhsa_forward_progress 0
		.amdhsa_shared_vgpr_count 0
		.amdhsa_exception_fp_ieee_invalid_op 0
		.amdhsa_exception_fp_denorm_src 0
		.amdhsa_exception_fp_ieee_div_zero 0
		.amdhsa_exception_fp_ieee_overflow 0
		.amdhsa_exception_fp_ieee_underflow 0
		.amdhsa_exception_fp_ieee_inexact 0
		.amdhsa_exception_int_div_zero 0
	.end_amdhsa_kernel
	.section	.text._ZN9rocsparseL25csrgemm_nnz_block_per_rowILj1024ELj32ELj16384ELj79EllEEvPKT4_S3_PKT3_S3_S6_S3_S6_S3_PS4_21rocsparse_index_base_S8_S8_bb,"axG",@progbits,_ZN9rocsparseL25csrgemm_nnz_block_per_rowILj1024ELj32ELj16384ELj79EllEEvPKT4_S3_PKT3_S3_S6_S3_S6_S3_PS4_21rocsparse_index_base_S8_S8_bb,comdat
.Lfunc_end52:
	.size	_ZN9rocsparseL25csrgemm_nnz_block_per_rowILj1024ELj32ELj16384ELj79EllEEvPKT4_S3_PKT3_S3_S6_S3_S6_S3_PS4_21rocsparse_index_base_S8_S8_bb, .Lfunc_end52-_ZN9rocsparseL25csrgemm_nnz_block_per_rowILj1024ELj32ELj16384ELj79EllEEvPKT4_S3_PKT3_S3_S6_S3_S6_S3_PS4_21rocsparse_index_base_S8_S8_bb
                                        ; -- End function
	.section	.AMDGPU.csdata,"",@progbits
; Kernel info:
; codeLenInByte = 2200
; NumSgprs: 38
; NumVgprs: 19
; ScratchSize: 0
; MemoryBound: 0
; FloatMode: 240
; IeeeMode: 1
; LDSByteSize: 0 bytes/workgroup (compile time only)
; SGPRBlocks: 4
; VGPRBlocks: 2
; NumSGPRsForWavesPerEU: 38
; NumVGPRsForWavesPerEU: 19
; Occupancy: 16
; WaveLimiterHint : 1
; COMPUTE_PGM_RSRC2:SCRATCH_EN: 0
; COMPUTE_PGM_RSRC2:USER_SGPR: 15
; COMPUTE_PGM_RSRC2:TRAP_HANDLER: 0
; COMPUTE_PGM_RSRC2:TGID_X_EN: 1
; COMPUTE_PGM_RSRC2:TGID_Y_EN: 0
; COMPUTE_PGM_RSRC2:TGID_Z_EN: 0
; COMPUTE_PGM_RSRC2:TIDIG_COMP_CNT: 0
	.section	.text._ZN9rocsparseL25csrgemm_nnz_block_per_rowILj1024ELj32ELj32768ELj79EllEEvPKT4_S3_PKT3_S3_S6_S3_S6_S3_PS4_21rocsparse_index_base_S8_S8_bb,"axG",@progbits,_ZN9rocsparseL25csrgemm_nnz_block_per_rowILj1024ELj32ELj32768ELj79EllEEvPKT4_S3_PKT3_S3_S6_S3_S6_S3_PS4_21rocsparse_index_base_S8_S8_bb,comdat
	.globl	_ZN9rocsparseL25csrgemm_nnz_block_per_rowILj1024ELj32ELj32768ELj79EllEEvPKT4_S3_PKT3_S3_S6_S3_S6_S3_PS4_21rocsparse_index_base_S8_S8_bb ; -- Begin function _ZN9rocsparseL25csrgemm_nnz_block_per_rowILj1024ELj32ELj32768ELj79EllEEvPKT4_S3_PKT3_S3_S6_S3_S6_S3_PS4_21rocsparse_index_base_S8_S8_bb
	.p2align	8
	.type	_ZN9rocsparseL25csrgemm_nnz_block_per_rowILj1024ELj32ELj32768ELj79EllEEvPKT4_S3_PKT3_S3_S6_S3_S6_S3_PS4_21rocsparse_index_base_S8_S8_bb,@function
_ZN9rocsparseL25csrgemm_nnz_block_per_rowILj1024ELj32ELj32768ELj79EllEEvPKT4_S3_PKT3_S3_S6_S3_S6_S3_PS4_21rocsparse_index_base_S8_S8_bb: ; @_ZN9rocsparseL25csrgemm_nnz_block_per_rowILj1024ELj32ELj32768ELj79EllEEvPKT4_S3_PKT3_S3_S6_S3_S6_S3_PS4_21rocsparse_index_base_S8_S8_bb
; %bb.0:
	s_mov_b32 s2, s15
	s_load_b256 s[8:15], s[0:1], 0x0
	s_mov_b32 s3, 0
	s_load_b64 s[20:21], s[0:1], 0x40
	v_mov_b32_e32 v1, -1
	v_or_b32_e32 v3, 0xfffffc00, v0
	v_lshl_add_u32 v4, v0, 3, 0
	s_delay_alu instid0(VALU_DEP_3) | instskip(SKIP_4) | instid1(SALU_CYCLE_1)
	v_mov_b32_e32 v2, v1
	s_waitcnt lgkmcnt(0)
	s_load_b64 s[4:5], s[8:9], 0x0
	s_waitcnt lgkmcnt(0)
	s_lshl_b64 s[4:5], s[4:5], 3
	s_add_u32 s6, s10, s4
	s_addc_u32 s7, s11, s5
	s_lshl_b64 s[4:5], s[2:3], 3
	s_delay_alu instid0(SALU_CYCLE_1)
	s_add_u32 s16, s6, s4
	s_addc_u32 s17, s7, s5
	s_load_b256 s[4:11], s[0:1], 0x20
	s_load_b64 s[22:23], s[16:17], 0x0
.LBB53_1:                               ; =>This Inner Loop Header: Depth=1
	v_add_nc_u32_e32 v3, 0x400, v3
	ds_store_b64 v4, v[1:2]
	v_add_nc_u32_e32 v4, 0x2000, v4
	v_cmp_lt_u32_e32 vcc_lo, 0x7bff, v3
	s_or_b32 s3, vcc_lo, s3
	s_delay_alu instid0(SALU_CYCLE_1)
	s_and_not1_b32 exec_lo, exec_lo, s3
	s_cbranch_execnz .LBB53_1
; %bb.2:
	s_or_b32 exec_lo, exec_lo, s3
	s_load_b128 s[16:19], s[0:1], 0x48
	v_dual_mov_b32 v1, 0 :: v_dual_and_b32 v14, 31, v0
	v_lshrrev_b32_e32 v13, 5, v0
	v_mov_b32_e32 v2, 0
	s_waitcnt lgkmcnt(0)
	s_barrier
	buffer_gl0_inv
	s_bitcmp1_b32 s19, 0
	s_cselect_b32 s2, -1, 0
	s_delay_alu instid0(SALU_CYCLE_1)
	s_and_b32 vcc_lo, exec_lo, s2
	s_cbranch_vccz .LBB53_20
; %bb.3:
	s_lshl_b64 s[2:3], s[22:23], 3
	s_mov_b32 s19, 0
	s_add_u32 s2, s12, s2
	s_addc_u32 s3, s13, s3
	s_load_b128 s[24:27], s[2:3], 0x0
	v_sub_co_u32 v1, s2, v13, s16
	s_delay_alu instid0(VALU_DEP_1) | instskip(SKIP_2) | instid1(VALU_DEP_2)
	v_sub_co_ci_u32_e64 v2, null, 0, 0, s2
	s_mov_b32 s3, exec_lo
	s_waitcnt lgkmcnt(0)
	v_add_co_u32 v3, vcc_lo, v1, s24
	s_delay_alu instid0(VALU_DEP_2) | instskip(SKIP_4) | instid1(SALU_CYCLE_1)
	v_add_co_ci_u32_e32 v4, vcc_lo, s25, v2, vcc_lo
	v_mov_b32_e32 v1, 0
	v_mov_b32_e32 v2, 0
	s_sub_u32 s12, s26, s16
	s_subb_u32 s13, s27, 0
	v_cmpx_gt_i64_e64 s[12:13], v[3:4]
	s_cbranch_execz .LBB53_19
; %bb.4:
	v_sub_co_u32 v15, s2, v14, s17
	v_mov_b32_e32 v1, 0
	v_mov_b32_e32 v2, 0
	v_sub_co_ci_u32_e64 v16, null, 0, 0, s2
	s_branch .LBB53_7
.LBB53_5:                               ;   in Loop: Header=BB53_7 Depth=1
	s_or_b32 exec_lo, exec_lo, s25
.LBB53_6:                               ;   in Loop: Header=BB53_7 Depth=1
	s_delay_alu instid0(SALU_CYCLE_1) | instskip(SKIP_2) | instid1(VALU_DEP_1)
	s_or_b32 exec_lo, exec_lo, s24
	v_add_co_u32 v3, vcc_lo, v3, 32
	v_add_co_ci_u32_e32 v4, vcc_lo, 0, v4, vcc_lo
	v_cmp_le_i64_e32 vcc_lo, s[12:13], v[3:4]
	s_or_b32 s19, vcc_lo, s19
	s_delay_alu instid0(SALU_CYCLE_1)
	s_and_not1_b32 exec_lo, exec_lo, s19
	s_cbranch_execz .LBB53_18
.LBB53_7:                               ; =>This Loop Header: Depth=1
                                        ;     Child Loop BB53_10 Depth 2
                                        ;       Child Loop BB53_13 Depth 3
	v_lshlrev_b64 v[5:6], 3, v[3:4]
	s_mov_b32 s24, exec_lo
	s_delay_alu instid0(VALU_DEP_1) | instskip(NEXT) | instid1(VALU_DEP_2)
	v_add_co_u32 v5, vcc_lo, s14, v5
	v_add_co_ci_u32_e32 v6, vcc_lo, s15, v6, vcc_lo
	global_load_b64 v[5:6], v[5:6], off
	s_waitcnt vmcnt(0)
	v_sub_co_u32 v5, vcc_lo, v5, s16
	v_subrev_co_ci_u32_e32 v6, vcc_lo, 0, v6, vcc_lo
	s_delay_alu instid0(VALU_DEP_1) | instskip(NEXT) | instid1(VALU_DEP_1)
	v_lshlrev_b64 v[5:6], 3, v[5:6]
	v_add_co_u32 v5, vcc_lo, s4, v5
	s_delay_alu instid0(VALU_DEP_2)
	v_add_co_ci_u32_e32 v6, vcc_lo, s5, v6, vcc_lo
	global_load_b128 v[7:10], v[5:6], off
	s_waitcnt vmcnt(0)
	v_sub_co_u32 v5, vcc_lo, v9, s17
	v_subrev_co_ci_u32_e32 v6, vcc_lo, 0, v10, vcc_lo
	v_add_co_u32 v7, vcc_lo, v15, v7
	v_add_co_ci_u32_e32 v8, vcc_lo, v16, v8, vcc_lo
	s_delay_alu instid0(VALU_DEP_1)
	v_cmpx_lt_i64_e64 v[7:8], v[5:6]
	s_cbranch_execz .LBB53_6
; %bb.8:                                ;   in Loop: Header=BB53_7 Depth=1
	s_mov_b32 s25, 0
	s_branch .LBB53_10
.LBB53_9:                               ;   in Loop: Header=BB53_10 Depth=2
	s_or_b32 exec_lo, exec_lo, s27
	v_add_co_u32 v7, vcc_lo, v7, 32
	v_add_co_ci_u32_e32 v8, vcc_lo, 0, v8, vcc_lo
	v_cndmask_b32_e64 v9, 0, 1, s26
	s_delay_alu instid0(VALU_DEP_2) | instskip(NEXT) | instid1(VALU_DEP_2)
	v_cmp_ge_i64_e32 vcc_lo, v[7:8], v[5:6]
	v_add_co_u32 v1, s2, v1, v9
	s_delay_alu instid0(VALU_DEP_1) | instskip(SKIP_1) | instid1(SALU_CYCLE_1)
	v_add_co_ci_u32_e64 v2, s2, 0, v2, s2
	s_or_b32 s25, vcc_lo, s25
	s_and_not1_b32 exec_lo, exec_lo, s25
	s_cbranch_execz .LBB53_5
.LBB53_10:                              ;   Parent Loop BB53_7 Depth=1
                                        ; =>  This Loop Header: Depth=2
                                        ;       Child Loop BB53_13 Depth 3
	v_lshlrev_b64 v[9:10], 3, v[7:8]
	s_mov_b32 s27, 0
                                        ; implicit-def: $sgpr26
                                        ; implicit-def: $sgpr28
                                        ; implicit-def: $sgpr29
                                        ; implicit-def: $sgpr30
	s_delay_alu instid0(VALU_DEP_1) | instskip(NEXT) | instid1(VALU_DEP_2)
	v_add_co_u32 v9, vcc_lo, s6, v9
	v_add_co_ci_u32_e32 v10, vcc_lo, s7, v10, vcc_lo
	global_load_b64 v[9:10], v[9:10], off
	s_waitcnt vmcnt(0)
	v_sub_co_u32 v9, vcc_lo, v9, s17
	v_subrev_co_ci_u32_e32 v10, vcc_lo, 0, v10, vcc_lo
	s_delay_alu instid0(VALU_DEP_2) | instskip(NEXT) | instid1(VALU_DEP_1)
	v_mul_lo_u32 v11, 0x4f, v9
	v_and_b32_e32 v17, 0x7fff, v11
	s_branch .LBB53_13
.LBB53_11:                              ;   in Loop: Header=BB53_13 Depth=3
	s_or_b32 exec_lo, exec_lo, s35
	s_delay_alu instid0(SALU_CYCLE_1)
	s_and_not1_b32 s2, s29, exec_lo
	s_and_b32 s29, s34, exec_lo
	s_and_not1_b32 s28, s28, exec_lo
	s_and_b32 s30, s33, exec_lo
	s_or_b32 s29, s2, s29
	s_or_b32 s28, s28, s30
                                        ; implicit-def: $sgpr30
.LBB53_12:                              ;   in Loop: Header=BB53_13 Depth=3
	s_or_b32 exec_lo, exec_lo, s31
	s_xor_b32 s2, s28, -1
	s_delay_alu instid0(SALU_CYCLE_1) | instskip(NEXT) | instid1(SALU_CYCLE_1)
	s_and_b32 s2, exec_lo, s2
	s_or_b32 s27, s2, s27
	s_and_not1_b32 s2, s30, exec_lo
	s_and_b32 s31, s29, exec_lo
	s_and_not1_b32 s26, s26, exec_lo
	s_or_b32 s30, s2, s31
	s_or_b32 s26, s26, s31
	s_and_not1_b32 exec_lo, exec_lo, s27
	s_cbranch_execz .LBB53_9
.LBB53_13:                              ;   Parent Loop BB53_7 Depth=1
                                        ;     Parent Loop BB53_10 Depth=2
                                        ; =>    This Inner Loop Header: Depth=3
	s_delay_alu instid0(VALU_DEP_1)
	v_lshl_add_u32 v18, v17, 3, 0
	s_and_not1_b32 s29, s29, exec_lo
	s_and_not1_b32 s28, s28, exec_lo
	s_mov_b32 s31, exec_lo
	ds_load_b64 v[11:12], v18
	s_waitcnt lgkmcnt(0)
	v_cmpx_ne_u64_e64 v[11:12], v[9:10]
	s_cbranch_execz .LBB53_12
; %bb.14:                               ;   in Loop: Header=BB53_13 Depth=3
	s_mov_b32 s2, exec_lo
                                        ; implicit-def: $sgpr34
                                        ; implicit-def: $sgpr33
	v_cmpx_ne_u64_e32 -1, v[11:12]
	s_xor_b32 s2, exec_lo, s2
; %bb.15:                               ;   in Loop: Header=BB53_13 Depth=3
	v_add_nc_u32_e32 v11, 1, v17
	s_mov_b32 s33, -1
	s_and_b32 s34, s30, exec_lo
                                        ; implicit-def: $vgpr18
	s_delay_alu instid0(VALU_DEP_1)
	v_and_b32_e32 v17, 0x7fff, v11
; %bb.16:                               ;   in Loop: Header=BB53_13 Depth=3
	s_and_not1_saveexec_b32 s35, s2
	s_cbranch_execz .LBB53_11
; %bb.17:                               ;   in Loop: Header=BB53_13 Depth=3
	v_mov_b32_e32 v11, -1
	v_mov_b32_e32 v12, -1
	s_and_not1_b32 s33, s33, exec_lo
	s_and_not1_b32 s34, s34, exec_lo
	ds_cmpstore_rtn_b64 v[11:12], v18, v[9:10], v[11:12]
	s_waitcnt lgkmcnt(0)
	v_cmp_eq_u64_e32 vcc_lo, -1, v[11:12]
	v_cmp_ne_u64_e64 s2, -1, v[11:12]
	s_or_b32 s30, vcc_lo, s30
	s_delay_alu instid0(VALU_DEP_1)
	s_and_b32 s2, s2, exec_lo
	s_and_b32 s30, s30, exec_lo
	s_or_b32 s33, s33, s2
	s_or_b32 s34, s34, s30
	s_branch .LBB53_11
.LBB53_18:
	s_or_b32 exec_lo, exec_lo, s19
.LBB53_19:
	s_delay_alu instid0(SALU_CYCLE_1)
	s_or_b32 exec_lo, exec_lo, s3
.LBB53_20:
	s_load_b32 s0, s[0:1], 0x54
	s_waitcnt lgkmcnt(0)
	s_bfe_u32 s0, s0, 0x10008
	s_delay_alu instid0(SALU_CYCLE_1)
	s_cmp_eq_u32 s0, 0
	s_cbranch_scc1 .LBB53_34
; %bb.21:
	s_lshl_b64 s[0:1], s[22:23], 3
	v_sub_co_u32 v3, s4, v13, s18
	s_add_u32 s0, s8, s0
	s_addc_u32 s1, s9, s1
	v_sub_co_ci_u32_e64 v4, null, 0, 0, s4
	s_load_b128 s[0:3], s[0:1], 0x0
	s_waitcnt lgkmcnt(0)
	v_add_co_u32 v3, vcc_lo, v3, s0
	s_delay_alu instid0(VALU_DEP_2) | instskip(SKIP_3) | instid1(VALU_DEP_1)
	v_add_co_ci_u32_e32 v4, vcc_lo, s1, v4, vcc_lo
	s_sub_u32 s2, s2, s18
	s_subb_u32 s3, s3, 0
	s_mov_b32 s1, exec_lo
	v_cmpx_gt_i64_e64 s[2:3], v[3:4]
	s_cbranch_execz .LBB53_33
; %bb.22:
	s_mov_b32 s4, 0
	s_branch .LBB53_24
.LBB53_23:                              ;   in Loop: Header=BB53_24 Depth=1
	s_or_b32 exec_lo, exec_lo, s6
	v_add_co_u32 v3, vcc_lo, v3, 32
	v_add_co_ci_u32_e32 v4, vcc_lo, 0, v4, vcc_lo
	v_cndmask_b32_e64 v5, 0, 1, s5
	s_delay_alu instid0(VALU_DEP_2) | instskip(NEXT) | instid1(VALU_DEP_2)
	v_cmp_le_i64_e32 vcc_lo, s[2:3], v[3:4]
	v_add_co_u32 v1, s0, v1, v5
	s_delay_alu instid0(VALU_DEP_1) | instskip(SKIP_1) | instid1(SALU_CYCLE_1)
	v_add_co_ci_u32_e64 v2, s0, 0, v2, s0
	s_or_b32 s4, vcc_lo, s4
	s_and_not1_b32 exec_lo, exec_lo, s4
	s_cbranch_execz .LBB53_32
.LBB53_24:                              ; =>This Loop Header: Depth=1
                                        ;     Child Loop BB53_27 Depth 2
	v_lshlrev_b64 v[5:6], 3, v[3:4]
	s_mov_b32 s6, 0
                                        ; implicit-def: $sgpr5
                                        ; implicit-def: $sgpr7
                                        ; implicit-def: $sgpr8
                                        ; implicit-def: $sgpr9
	s_delay_alu instid0(VALU_DEP_1) | instskip(NEXT) | instid1(VALU_DEP_2)
	v_add_co_u32 v5, vcc_lo, s10, v5
	v_add_co_ci_u32_e32 v6, vcc_lo, s11, v6, vcc_lo
	global_load_b64 v[5:6], v[5:6], off
	s_waitcnt vmcnt(0)
	v_sub_co_u32 v5, vcc_lo, v5, s18
	v_subrev_co_ci_u32_e32 v6, vcc_lo, 0, v6, vcc_lo
	s_delay_alu instid0(VALU_DEP_2) | instskip(NEXT) | instid1(VALU_DEP_1)
	v_mul_lo_u32 v7, 0x4f, v5
	v_and_b32_e32 v9, 0x7fff, v7
	s_branch .LBB53_27
.LBB53_25:                              ;   in Loop: Header=BB53_27 Depth=2
	s_or_b32 exec_lo, exec_lo, s15
	s_delay_alu instid0(SALU_CYCLE_1)
	s_and_not1_b32 s0, s8, exec_lo
	s_and_b32 s8, s14, exec_lo
	s_and_not1_b32 s7, s7, exec_lo
	s_and_b32 s9, s13, exec_lo
	s_or_b32 s8, s0, s8
	s_or_b32 s7, s7, s9
                                        ; implicit-def: $sgpr9
.LBB53_26:                              ;   in Loop: Header=BB53_27 Depth=2
	s_or_b32 exec_lo, exec_lo, s12
	s_xor_b32 s0, s7, -1
	s_delay_alu instid0(SALU_CYCLE_1) | instskip(NEXT) | instid1(SALU_CYCLE_1)
	s_and_b32 s0, exec_lo, s0
	s_or_b32 s6, s0, s6
	s_and_not1_b32 s0, s9, exec_lo
	s_and_b32 s12, s8, exec_lo
	s_and_not1_b32 s5, s5, exec_lo
	s_or_b32 s9, s0, s12
	s_or_b32 s5, s5, s12
	s_and_not1_b32 exec_lo, exec_lo, s6
	s_cbranch_execz .LBB53_23
.LBB53_27:                              ;   Parent Loop BB53_24 Depth=1
                                        ; =>  This Inner Loop Header: Depth=2
	s_delay_alu instid0(VALU_DEP_1)
	v_lshl_add_u32 v10, v9, 3, 0
	s_and_not1_b32 s8, s8, exec_lo
	s_and_not1_b32 s7, s7, exec_lo
	s_mov_b32 s12, exec_lo
	ds_load_b64 v[7:8], v10
	s_waitcnt lgkmcnt(0)
	v_cmpx_ne_u64_e64 v[7:8], v[5:6]
	s_cbranch_execz .LBB53_26
; %bb.28:                               ;   in Loop: Header=BB53_27 Depth=2
	s_mov_b32 s0, exec_lo
                                        ; implicit-def: $sgpr14
                                        ; implicit-def: $sgpr13
	v_cmpx_ne_u64_e32 -1, v[7:8]
	s_xor_b32 s0, exec_lo, s0
; %bb.29:                               ;   in Loop: Header=BB53_27 Depth=2
	v_add_nc_u32_e32 v7, 1, v9
	s_mov_b32 s13, -1
	s_and_b32 s14, s9, exec_lo
                                        ; implicit-def: $vgpr10
	s_delay_alu instid0(VALU_DEP_1)
	v_and_b32_e32 v9, 0x7fff, v7
; %bb.30:                               ;   in Loop: Header=BB53_27 Depth=2
	s_and_not1_saveexec_b32 s15, s0
	s_cbranch_execz .LBB53_25
; %bb.31:                               ;   in Loop: Header=BB53_27 Depth=2
	v_mov_b32_e32 v7, -1
	v_mov_b32_e32 v8, -1
	s_and_not1_b32 s13, s13, exec_lo
	s_and_not1_b32 s14, s14, exec_lo
	ds_cmpstore_rtn_b64 v[7:8], v10, v[5:6], v[7:8]
	s_waitcnt lgkmcnt(0)
	v_cmp_eq_u64_e32 vcc_lo, -1, v[7:8]
	v_cmp_ne_u64_e64 s0, -1, v[7:8]
	s_or_b32 s9, vcc_lo, s9
	s_delay_alu instid0(VALU_DEP_1)
	s_and_b32 s0, s0, exec_lo
	s_and_b32 s9, s9, exec_lo
	s_or_b32 s13, s13, s0
	s_or_b32 s14, s14, s9
	s_branch .LBB53_25
.LBB53_32:
	s_or_b32 exec_lo, exec_lo, s4
.LBB53_33:
	s_delay_alu instid0(SALU_CYCLE_1)
	s_or_b32 exec_lo, exec_lo, s1
.LBB53_34:
	v_mbcnt_lo_u32_b32 v7, -1, 0
	s_mov_b32 s0, exec_lo
	s_barrier
	buffer_gl0_inv
	v_xor_b32_e32 v3, 16, v7
	v_xor_b32_e32 v4, 8, v7
	;; [unrolled: 1-line block ×3, first 2 shown]
	s_delay_alu instid0(VALU_DEP_3) | instskip(SKIP_1) | instid1(VALU_DEP_4)
	v_cmp_gt_i32_e32 vcc_lo, 32, v3
	v_cndmask_b32_e32 v3, v7, v3, vcc_lo
	v_cmp_gt_i32_e32 vcc_lo, 32, v4
	v_cndmask_b32_e32 v4, v7, v4, vcc_lo
	s_delay_alu instid0(VALU_DEP_1) | instskip(NEXT) | instid1(VALU_DEP_4)
	v_lshlrev_b32_e32 v4, 2, v4
	v_lshlrev_b32_e32 v3, 2, v3
	ds_bpermute_b32 v5, v3, v1
	ds_bpermute_b32 v6, v3, v2
	s_waitcnt lgkmcnt(1)
	v_add_co_u32 v1, vcc_lo, v1, v5
	v_add_co_ci_u32_e32 v2, vcc_lo, 0, v2, vcc_lo
	v_xor_b32_e32 v5, 4, v7
	ds_bpermute_b32 v8, v4, v1
	v_add_co_u32 v1, vcc_lo, 0, v1
	s_waitcnt lgkmcnt(1)
	v_add_co_ci_u32_e32 v2, vcc_lo, v6, v2, vcc_lo
	v_cmp_gt_i32_e32 vcc_lo, 32, v5
	ds_bpermute_b32 v6, v4, v2
	v_cndmask_b32_e32 v5, v7, v5, vcc_lo
	s_delay_alu instid0(VALU_DEP_1)
	v_lshlrev_b32_e32 v5, 2, v5
	s_waitcnt lgkmcnt(1)
	v_add_co_u32 v1, vcc_lo, v1, v8
	v_add_co_ci_u32_e32 v2, vcc_lo, 0, v2, vcc_lo
	ds_bpermute_b32 v8, v5, v1
	v_add_co_u32 v1, vcc_lo, v1, 0
	s_waitcnt lgkmcnt(1)
	v_add_co_ci_u32_e32 v2, vcc_lo, v2, v6, vcc_lo
	v_xor_b32_e32 v6, 2, v7
	ds_bpermute_b32 v9, v5, v2
	v_cmp_gt_i32_e32 vcc_lo, 32, v6
	v_cndmask_b32_e32 v6, v7, v6, vcc_lo
	s_delay_alu instid0(VALU_DEP_1)
	v_lshlrev_b32_e32 v6, 2, v6
	s_waitcnt lgkmcnt(1)
	v_add_co_u32 v1, vcc_lo, v1, v8
	v_add_co_ci_u32_e32 v2, vcc_lo, 0, v2, vcc_lo
	ds_bpermute_b32 v8, v6, v1
	v_add_co_u32 v1, vcc_lo, v1, 0
	s_waitcnt lgkmcnt(1)
	v_add_co_ci_u32_e32 v2, vcc_lo, v2, v9, vcc_lo
	v_cmp_gt_i32_e32 vcc_lo, 32, v10
	ds_bpermute_b32 v9, v6, v2
	v_cndmask_b32_e32 v7, v7, v10, vcc_lo
	s_delay_alu instid0(VALU_DEP_1) | instskip(SKIP_3) | instid1(VALU_DEP_2)
	v_lshlrev_b32_e32 v7, 2, v7
	s_waitcnt lgkmcnt(1)
	v_add_co_u32 v1, vcc_lo, v1, v8
	v_add_co_ci_u32_e32 v8, vcc_lo, 0, v2, vcc_lo
	v_add_co_u32 v2, vcc_lo, v1, 0
	s_waitcnt lgkmcnt(0)
	s_delay_alu instid0(VALU_DEP_2)
	v_add_co_ci_u32_e32 v8, vcc_lo, v8, v9, vcc_lo
	ds_bpermute_b32 v9, v7, v1
	ds_bpermute_b32 v1, v7, v8
	v_cmpx_eq_u32_e32 31, v14
	s_cbranch_execz .LBB53_36
; %bb.35:
	s_waitcnt lgkmcnt(1)
	v_add_co_u32 v2, vcc_lo, v2, v9
	v_add_co_ci_u32_e32 v9, vcc_lo, 0, v8, vcc_lo
	v_lshl_add_u32 v10, v13, 3, 0
	s_delay_alu instid0(VALU_DEP_3) | instskip(SKIP_1) | instid1(VALU_DEP_3)
	v_add_co_u32 v8, vcc_lo, v2, 0
	s_waitcnt lgkmcnt(0)
	v_add_co_ci_u32_e32 v9, vcc_lo, v9, v1, vcc_lo
	ds_store_b64 v10, v[8:9]
.LBB53_36:
	s_or_b32 exec_lo, exec_lo, s0
	s_waitcnt lgkmcnt(0)
	v_mov_b32_e32 v1, 0
	v_mov_b32_e32 v2, 0
	s_mov_b32 s0, exec_lo
	s_barrier
	buffer_gl0_inv
	v_cmpx_gt_u32_e32 32, v0
	s_cbranch_execz .LBB53_38
; %bb.37:
	v_lshl_add_u32 v1, v0, 3, 0
	ds_load_b64 v[1:2], v1
.LBB53_38:
	s_or_b32 exec_lo, exec_lo, s0
	s_waitcnt lgkmcnt(0)
	ds_bpermute_b32 v8, v3, v1
	ds_bpermute_b32 v3, v3, v2
	s_mov_b32 s0, exec_lo
	s_waitcnt lgkmcnt(1)
	v_add_co_u32 v1, vcc_lo, v1, v8
	v_add_co_ci_u32_e32 v2, vcc_lo, 0, v2, vcc_lo
	ds_bpermute_b32 v8, v4, v1
	v_add_co_u32 v1, vcc_lo, 0, v1
	s_waitcnt lgkmcnt(1)
	v_add_co_ci_u32_e32 v2, vcc_lo, v3, v2, vcc_lo
	ds_bpermute_b32 v3, v4, v2
	s_waitcnt lgkmcnt(1)
	v_add_co_u32 v1, vcc_lo, v1, v8
	v_add_co_ci_u32_e32 v2, vcc_lo, 0, v2, vcc_lo
	ds_bpermute_b32 v4, v5, v1
	v_add_co_u32 v1, vcc_lo, v1, 0
	s_waitcnt lgkmcnt(1)
	v_add_co_ci_u32_e32 v2, vcc_lo, v2, v3, vcc_lo
	ds_bpermute_b32 v3, v5, v2
	;; [unrolled: 8-line block ×3, first 2 shown]
	s_waitcnt lgkmcnt(1)
	v_add_co_u32 v1, vcc_lo, v1, v4
	v_add_co_ci_u32_e32 v4, vcc_lo, 0, v2, vcc_lo
	s_delay_alu instid0(VALU_DEP_2) | instskip(SKIP_1) | instid1(VALU_DEP_2)
	v_add_co_u32 v2, vcc_lo, v1, 0
	s_waitcnt lgkmcnt(0)
	v_add_co_ci_u32_e32 v3, vcc_lo, v4, v3, vcc_lo
	ds_bpermute_b32 v4, v7, v1
	ds_bpermute_b32 v1, v7, v3
	v_cmpx_eq_u32_e32 31, v0
	s_cbranch_execz .LBB53_40
; %bb.39:
	s_waitcnt lgkmcnt(1)
	v_add_co_u32 v0, vcc_lo, v2, v4
	v_add_co_ci_u32_e32 v2, vcc_lo, 0, v3, vcc_lo
	s_lshl_b64 s[0:1], s[22:23], 3
	s_delay_alu instid0(VALU_DEP_2)
	v_add_co_u32 v0, vcc_lo, v0, 0
	v_mov_b32_e32 v3, 0
	s_waitcnt lgkmcnt(0)
	v_add_co_ci_u32_e32 v1, vcc_lo, v2, v1, vcc_lo
	s_add_u32 s0, s20, s0
	s_addc_u32 s1, s21, s1
	global_store_b64 v3, v[0:1], s[0:1]
.LBB53_40:
	s_nop 0
	s_sendmsg sendmsg(MSG_DEALLOC_VGPRS)
	s_endpgm
	.section	.rodata,"a",@progbits
	.p2align	6, 0x0
	.amdhsa_kernel _ZN9rocsparseL25csrgemm_nnz_block_per_rowILj1024ELj32ELj32768ELj79EllEEvPKT4_S3_PKT3_S3_S6_S3_S6_S3_PS4_21rocsparse_index_base_S8_S8_bb
		.amdhsa_group_segment_fixed_size 0
		.amdhsa_private_segment_fixed_size 0
		.amdhsa_kernarg_size 88
		.amdhsa_user_sgpr_count 15
		.amdhsa_user_sgpr_dispatch_ptr 0
		.amdhsa_user_sgpr_queue_ptr 0
		.amdhsa_user_sgpr_kernarg_segment_ptr 1
		.amdhsa_user_sgpr_dispatch_id 0
		.amdhsa_user_sgpr_private_segment_size 0
		.amdhsa_wavefront_size32 1
		.amdhsa_uses_dynamic_stack 0
		.amdhsa_enable_private_segment 0
		.amdhsa_system_sgpr_workgroup_id_x 1
		.amdhsa_system_sgpr_workgroup_id_y 0
		.amdhsa_system_sgpr_workgroup_id_z 0
		.amdhsa_system_sgpr_workgroup_info 0
		.amdhsa_system_vgpr_workitem_id 0
		.amdhsa_next_free_vgpr 19
		.amdhsa_next_free_sgpr 36
		.amdhsa_reserve_vcc 1
		.amdhsa_float_round_mode_32 0
		.amdhsa_float_round_mode_16_64 0
		.amdhsa_float_denorm_mode_32 3
		.amdhsa_float_denorm_mode_16_64 3
		.amdhsa_dx10_clamp 1
		.amdhsa_ieee_mode 1
		.amdhsa_fp16_overflow 0
		.amdhsa_workgroup_processor_mode 1
		.amdhsa_memory_ordered 1
		.amdhsa_forward_progress 0
		.amdhsa_shared_vgpr_count 0
		.amdhsa_exception_fp_ieee_invalid_op 0
		.amdhsa_exception_fp_denorm_src 0
		.amdhsa_exception_fp_ieee_div_zero 0
		.amdhsa_exception_fp_ieee_overflow 0
		.amdhsa_exception_fp_ieee_underflow 0
		.amdhsa_exception_fp_ieee_inexact 0
		.amdhsa_exception_int_div_zero 0
	.end_amdhsa_kernel
	.section	.text._ZN9rocsparseL25csrgemm_nnz_block_per_rowILj1024ELj32ELj32768ELj79EllEEvPKT4_S3_PKT3_S3_S6_S3_S6_S3_PS4_21rocsparse_index_base_S8_S8_bb,"axG",@progbits,_ZN9rocsparseL25csrgemm_nnz_block_per_rowILj1024ELj32ELj32768ELj79EllEEvPKT4_S3_PKT3_S3_S6_S3_S6_S3_PS4_21rocsparse_index_base_S8_S8_bb,comdat
.Lfunc_end53:
	.size	_ZN9rocsparseL25csrgemm_nnz_block_per_rowILj1024ELj32ELj32768ELj79EllEEvPKT4_S3_PKT3_S3_S6_S3_S6_S3_PS4_21rocsparse_index_base_S8_S8_bb, .Lfunc_end53-_ZN9rocsparseL25csrgemm_nnz_block_per_rowILj1024ELj32ELj32768ELj79EllEEvPKT4_S3_PKT3_S3_S6_S3_S6_S3_PS4_21rocsparse_index_base_S8_S8_bb
                                        ; -- End function
	.section	.AMDGPU.csdata,"",@progbits
; Kernel info:
; codeLenInByte = 2200
; NumSgprs: 38
; NumVgprs: 19
; ScratchSize: 0
; MemoryBound: 0
; FloatMode: 240
; IeeeMode: 1
; LDSByteSize: 0 bytes/workgroup (compile time only)
; SGPRBlocks: 4
; VGPRBlocks: 2
; NumSGPRsForWavesPerEU: 38
; NumVGPRsForWavesPerEU: 19
; Occupancy: 16
; WaveLimiterHint : 1
; COMPUTE_PGM_RSRC2:SCRATCH_EN: 0
; COMPUTE_PGM_RSRC2:USER_SGPR: 15
; COMPUTE_PGM_RSRC2:TRAP_HANDLER: 0
; COMPUTE_PGM_RSRC2:TGID_X_EN: 1
; COMPUTE_PGM_RSRC2:TGID_Y_EN: 0
; COMPUTE_PGM_RSRC2:TGID_Z_EN: 0
; COMPUTE_PGM_RSRC2:TIDIG_COMP_CNT: 0
	.section	.text._ZN9rocsparseL25csrgemm_nnz_block_per_rowILj1024ELj32ELj65536ELj79EllEEvPKT4_S3_PKT3_S3_S6_S3_S6_S3_PS4_21rocsparse_index_base_S8_S8_bb,"axG",@progbits,_ZN9rocsparseL25csrgemm_nnz_block_per_rowILj1024ELj32ELj65536ELj79EllEEvPKT4_S3_PKT3_S3_S6_S3_S6_S3_PS4_21rocsparse_index_base_S8_S8_bb,comdat
	.globl	_ZN9rocsparseL25csrgemm_nnz_block_per_rowILj1024ELj32ELj65536ELj79EllEEvPKT4_S3_PKT3_S3_S6_S3_S6_S3_PS4_21rocsparse_index_base_S8_S8_bb ; -- Begin function _ZN9rocsparseL25csrgemm_nnz_block_per_rowILj1024ELj32ELj65536ELj79EllEEvPKT4_S3_PKT3_S3_S6_S3_S6_S3_PS4_21rocsparse_index_base_S8_S8_bb
	.p2align	8
	.type	_ZN9rocsparseL25csrgemm_nnz_block_per_rowILj1024ELj32ELj65536ELj79EllEEvPKT4_S3_PKT3_S3_S6_S3_S6_S3_PS4_21rocsparse_index_base_S8_S8_bb,@function
_ZN9rocsparseL25csrgemm_nnz_block_per_rowILj1024ELj32ELj65536ELj79EllEEvPKT4_S3_PKT3_S3_S6_S3_S6_S3_PS4_21rocsparse_index_base_S8_S8_bb: ; @_ZN9rocsparseL25csrgemm_nnz_block_per_rowILj1024ELj32ELj65536ELj79EllEEvPKT4_S3_PKT3_S3_S6_S3_S6_S3_PS4_21rocsparse_index_base_S8_S8_bb
; %bb.0:
	s_mov_b32 s2, s15
	s_load_b256 s[8:15], s[0:1], 0x0
	s_mov_b32 s3, 0
	s_load_b64 s[20:21], s[0:1], 0x40
	v_mov_b32_e32 v1, -1
	v_or_b32_e32 v3, 0xfffffc00, v0
	v_lshl_add_u32 v4, v0, 3, 0
	s_delay_alu instid0(VALU_DEP_3) | instskip(SKIP_4) | instid1(SALU_CYCLE_1)
	v_mov_b32_e32 v2, v1
	s_waitcnt lgkmcnt(0)
	s_load_b64 s[4:5], s[8:9], 0x0
	s_waitcnt lgkmcnt(0)
	s_lshl_b64 s[4:5], s[4:5], 3
	s_add_u32 s6, s10, s4
	s_addc_u32 s7, s11, s5
	s_lshl_b64 s[4:5], s[2:3], 3
	s_delay_alu instid0(SALU_CYCLE_1)
	s_add_u32 s16, s6, s4
	s_addc_u32 s17, s7, s5
	s_load_b256 s[4:11], s[0:1], 0x20
	s_load_b64 s[22:23], s[16:17], 0x0
.LBB54_1:                               ; =>This Inner Loop Header: Depth=1
	v_add_nc_u32_e32 v3, 0x400, v3
	ds_store_b64 v4, v[1:2]
	v_add_nc_u32_e32 v4, 0x2000, v4
	v_cmp_lt_u32_e32 vcc_lo, 0xfbff, v3
	s_or_b32 s3, vcc_lo, s3
	s_delay_alu instid0(SALU_CYCLE_1)
	s_and_not1_b32 exec_lo, exec_lo, s3
	s_cbranch_execnz .LBB54_1
; %bb.2:
	s_or_b32 exec_lo, exec_lo, s3
	s_load_b128 s[16:19], s[0:1], 0x48
	v_dual_mov_b32 v1, 0 :: v_dual_and_b32 v14, 31, v0
	v_lshrrev_b32_e32 v13, 5, v0
	v_mov_b32_e32 v2, 0
	s_waitcnt lgkmcnt(0)
	s_barrier
	buffer_gl0_inv
	s_bitcmp1_b32 s19, 0
	s_cselect_b32 s2, -1, 0
	s_delay_alu instid0(SALU_CYCLE_1)
	s_and_b32 vcc_lo, exec_lo, s2
	s_cbranch_vccz .LBB54_20
; %bb.3:
	s_lshl_b64 s[2:3], s[22:23], 3
	s_mov_b32 s19, 0
	s_add_u32 s2, s12, s2
	s_addc_u32 s3, s13, s3
	s_load_b128 s[24:27], s[2:3], 0x0
	v_sub_co_u32 v1, s2, v13, s16
	s_delay_alu instid0(VALU_DEP_1) | instskip(SKIP_2) | instid1(VALU_DEP_2)
	v_sub_co_ci_u32_e64 v2, null, 0, 0, s2
	s_mov_b32 s3, exec_lo
	s_waitcnt lgkmcnt(0)
	v_add_co_u32 v3, vcc_lo, v1, s24
	s_delay_alu instid0(VALU_DEP_2) | instskip(SKIP_4) | instid1(SALU_CYCLE_1)
	v_add_co_ci_u32_e32 v4, vcc_lo, s25, v2, vcc_lo
	v_mov_b32_e32 v1, 0
	v_mov_b32_e32 v2, 0
	s_sub_u32 s12, s26, s16
	s_subb_u32 s13, s27, 0
	v_cmpx_gt_i64_e64 s[12:13], v[3:4]
	s_cbranch_execz .LBB54_19
; %bb.4:
	v_sub_co_u32 v15, s2, v14, s17
	v_mov_b32_e32 v1, 0
	v_mov_b32_e32 v2, 0
	v_sub_co_ci_u32_e64 v16, null, 0, 0, s2
	s_branch .LBB54_7
.LBB54_5:                               ;   in Loop: Header=BB54_7 Depth=1
	s_or_b32 exec_lo, exec_lo, s25
.LBB54_6:                               ;   in Loop: Header=BB54_7 Depth=1
	s_delay_alu instid0(SALU_CYCLE_1) | instskip(SKIP_2) | instid1(VALU_DEP_1)
	s_or_b32 exec_lo, exec_lo, s24
	v_add_co_u32 v3, vcc_lo, v3, 32
	v_add_co_ci_u32_e32 v4, vcc_lo, 0, v4, vcc_lo
	v_cmp_le_i64_e32 vcc_lo, s[12:13], v[3:4]
	s_or_b32 s19, vcc_lo, s19
	s_delay_alu instid0(SALU_CYCLE_1)
	s_and_not1_b32 exec_lo, exec_lo, s19
	s_cbranch_execz .LBB54_18
.LBB54_7:                               ; =>This Loop Header: Depth=1
                                        ;     Child Loop BB54_10 Depth 2
                                        ;       Child Loop BB54_13 Depth 3
	v_lshlrev_b64 v[5:6], 3, v[3:4]
	s_mov_b32 s24, exec_lo
	s_delay_alu instid0(VALU_DEP_1) | instskip(NEXT) | instid1(VALU_DEP_2)
	v_add_co_u32 v5, vcc_lo, s14, v5
	v_add_co_ci_u32_e32 v6, vcc_lo, s15, v6, vcc_lo
	global_load_b64 v[5:6], v[5:6], off
	s_waitcnt vmcnt(0)
	v_sub_co_u32 v5, vcc_lo, v5, s16
	v_subrev_co_ci_u32_e32 v6, vcc_lo, 0, v6, vcc_lo
	s_delay_alu instid0(VALU_DEP_1) | instskip(NEXT) | instid1(VALU_DEP_1)
	v_lshlrev_b64 v[5:6], 3, v[5:6]
	v_add_co_u32 v5, vcc_lo, s4, v5
	s_delay_alu instid0(VALU_DEP_2)
	v_add_co_ci_u32_e32 v6, vcc_lo, s5, v6, vcc_lo
	global_load_b128 v[7:10], v[5:6], off
	s_waitcnt vmcnt(0)
	v_sub_co_u32 v5, vcc_lo, v9, s17
	v_subrev_co_ci_u32_e32 v6, vcc_lo, 0, v10, vcc_lo
	v_add_co_u32 v7, vcc_lo, v15, v7
	v_add_co_ci_u32_e32 v8, vcc_lo, v16, v8, vcc_lo
	s_delay_alu instid0(VALU_DEP_1)
	v_cmpx_lt_i64_e64 v[7:8], v[5:6]
	s_cbranch_execz .LBB54_6
; %bb.8:                                ;   in Loop: Header=BB54_7 Depth=1
	s_mov_b32 s25, 0
	s_branch .LBB54_10
.LBB54_9:                               ;   in Loop: Header=BB54_10 Depth=2
	s_or_b32 exec_lo, exec_lo, s27
	v_add_co_u32 v7, vcc_lo, v7, 32
	v_add_co_ci_u32_e32 v8, vcc_lo, 0, v8, vcc_lo
	v_cndmask_b32_e64 v9, 0, 1, s26
	s_delay_alu instid0(VALU_DEP_2) | instskip(NEXT) | instid1(VALU_DEP_2)
	v_cmp_ge_i64_e32 vcc_lo, v[7:8], v[5:6]
	v_add_co_u32 v1, s2, v1, v9
	s_delay_alu instid0(VALU_DEP_1) | instskip(SKIP_1) | instid1(SALU_CYCLE_1)
	v_add_co_ci_u32_e64 v2, s2, 0, v2, s2
	s_or_b32 s25, vcc_lo, s25
	s_and_not1_b32 exec_lo, exec_lo, s25
	s_cbranch_execz .LBB54_5
.LBB54_10:                              ;   Parent Loop BB54_7 Depth=1
                                        ; =>  This Loop Header: Depth=2
                                        ;       Child Loop BB54_13 Depth 3
	v_lshlrev_b64 v[9:10], 3, v[7:8]
	s_mov_b32 s27, 0
                                        ; implicit-def: $sgpr26
                                        ; implicit-def: $sgpr28
                                        ; implicit-def: $sgpr29
                                        ; implicit-def: $sgpr30
	s_delay_alu instid0(VALU_DEP_1) | instskip(NEXT) | instid1(VALU_DEP_2)
	v_add_co_u32 v9, vcc_lo, s6, v9
	v_add_co_ci_u32_e32 v10, vcc_lo, s7, v10, vcc_lo
	global_load_b64 v[9:10], v[9:10], off
	s_waitcnt vmcnt(0)
	v_sub_co_u32 v9, vcc_lo, v9, s17
	v_subrev_co_ci_u32_e32 v10, vcc_lo, 0, v10, vcc_lo
	s_delay_alu instid0(VALU_DEP_2) | instskip(NEXT) | instid1(VALU_DEP_1)
	v_mul_lo_u32 v11, 0x4f, v9
	v_and_b32_e32 v17, 0xffff, v11
	s_branch .LBB54_13
.LBB54_11:                              ;   in Loop: Header=BB54_13 Depth=3
	s_or_b32 exec_lo, exec_lo, s35
	s_delay_alu instid0(SALU_CYCLE_1)
	s_and_not1_b32 s2, s29, exec_lo
	s_and_b32 s29, s34, exec_lo
	s_and_not1_b32 s28, s28, exec_lo
	s_and_b32 s30, s33, exec_lo
	s_or_b32 s29, s2, s29
	s_or_b32 s28, s28, s30
                                        ; implicit-def: $sgpr30
.LBB54_12:                              ;   in Loop: Header=BB54_13 Depth=3
	s_or_b32 exec_lo, exec_lo, s31
	s_xor_b32 s2, s28, -1
	s_delay_alu instid0(SALU_CYCLE_1) | instskip(NEXT) | instid1(SALU_CYCLE_1)
	s_and_b32 s2, exec_lo, s2
	s_or_b32 s27, s2, s27
	s_and_not1_b32 s2, s30, exec_lo
	s_and_b32 s31, s29, exec_lo
	s_and_not1_b32 s26, s26, exec_lo
	s_or_b32 s30, s2, s31
	s_or_b32 s26, s26, s31
	s_and_not1_b32 exec_lo, exec_lo, s27
	s_cbranch_execz .LBB54_9
.LBB54_13:                              ;   Parent Loop BB54_7 Depth=1
                                        ;     Parent Loop BB54_10 Depth=2
                                        ; =>    This Inner Loop Header: Depth=3
	s_delay_alu instid0(VALU_DEP_1)
	v_lshl_add_u32 v18, v17, 3, 0
	s_and_not1_b32 s29, s29, exec_lo
	s_and_not1_b32 s28, s28, exec_lo
	s_mov_b32 s31, exec_lo
	ds_load_b64 v[11:12], v18
	s_waitcnt lgkmcnt(0)
	v_cmpx_ne_u64_e64 v[11:12], v[9:10]
	s_cbranch_execz .LBB54_12
; %bb.14:                               ;   in Loop: Header=BB54_13 Depth=3
	s_mov_b32 s2, exec_lo
                                        ; implicit-def: $sgpr34
                                        ; implicit-def: $sgpr33
	v_cmpx_ne_u64_e32 -1, v[11:12]
	s_xor_b32 s2, exec_lo, s2
; %bb.15:                               ;   in Loop: Header=BB54_13 Depth=3
	v_add_nc_u32_e32 v11, 1, v17
	s_mov_b32 s33, -1
	s_and_b32 s34, s30, exec_lo
                                        ; implicit-def: $vgpr18
	s_delay_alu instid0(VALU_DEP_1)
	v_and_b32_e32 v17, 0xffff, v11
; %bb.16:                               ;   in Loop: Header=BB54_13 Depth=3
	s_and_not1_saveexec_b32 s35, s2
	s_cbranch_execz .LBB54_11
; %bb.17:                               ;   in Loop: Header=BB54_13 Depth=3
	v_mov_b32_e32 v11, -1
	v_mov_b32_e32 v12, -1
	s_and_not1_b32 s33, s33, exec_lo
	s_and_not1_b32 s34, s34, exec_lo
	ds_cmpstore_rtn_b64 v[11:12], v18, v[9:10], v[11:12]
	s_waitcnt lgkmcnt(0)
	v_cmp_eq_u64_e32 vcc_lo, -1, v[11:12]
	v_cmp_ne_u64_e64 s2, -1, v[11:12]
	s_or_b32 s30, vcc_lo, s30
	s_delay_alu instid0(VALU_DEP_1)
	s_and_b32 s2, s2, exec_lo
	s_and_b32 s30, s30, exec_lo
	s_or_b32 s33, s33, s2
	s_or_b32 s34, s34, s30
	s_branch .LBB54_11
.LBB54_18:
	s_or_b32 exec_lo, exec_lo, s19
.LBB54_19:
	s_delay_alu instid0(SALU_CYCLE_1)
	s_or_b32 exec_lo, exec_lo, s3
.LBB54_20:
	s_load_b32 s0, s[0:1], 0x54
	s_waitcnt lgkmcnt(0)
	s_bfe_u32 s0, s0, 0x10008
	s_delay_alu instid0(SALU_CYCLE_1)
	s_cmp_eq_u32 s0, 0
	s_cbranch_scc1 .LBB54_34
; %bb.21:
	s_lshl_b64 s[0:1], s[22:23], 3
	v_sub_co_u32 v3, s4, v13, s18
	s_add_u32 s0, s8, s0
	s_addc_u32 s1, s9, s1
	v_sub_co_ci_u32_e64 v4, null, 0, 0, s4
	s_load_b128 s[0:3], s[0:1], 0x0
	s_waitcnt lgkmcnt(0)
	v_add_co_u32 v3, vcc_lo, v3, s0
	s_delay_alu instid0(VALU_DEP_2) | instskip(SKIP_3) | instid1(VALU_DEP_1)
	v_add_co_ci_u32_e32 v4, vcc_lo, s1, v4, vcc_lo
	s_sub_u32 s2, s2, s18
	s_subb_u32 s3, s3, 0
	s_mov_b32 s1, exec_lo
	v_cmpx_gt_i64_e64 s[2:3], v[3:4]
	s_cbranch_execz .LBB54_33
; %bb.22:
	s_mov_b32 s4, 0
	s_branch .LBB54_24
.LBB54_23:                              ;   in Loop: Header=BB54_24 Depth=1
	s_or_b32 exec_lo, exec_lo, s6
	v_add_co_u32 v3, vcc_lo, v3, 32
	v_add_co_ci_u32_e32 v4, vcc_lo, 0, v4, vcc_lo
	v_cndmask_b32_e64 v5, 0, 1, s5
	s_delay_alu instid0(VALU_DEP_2) | instskip(NEXT) | instid1(VALU_DEP_2)
	v_cmp_le_i64_e32 vcc_lo, s[2:3], v[3:4]
	v_add_co_u32 v1, s0, v1, v5
	s_delay_alu instid0(VALU_DEP_1) | instskip(SKIP_1) | instid1(SALU_CYCLE_1)
	v_add_co_ci_u32_e64 v2, s0, 0, v2, s0
	s_or_b32 s4, vcc_lo, s4
	s_and_not1_b32 exec_lo, exec_lo, s4
	s_cbranch_execz .LBB54_32
.LBB54_24:                              ; =>This Loop Header: Depth=1
                                        ;     Child Loop BB54_27 Depth 2
	v_lshlrev_b64 v[5:6], 3, v[3:4]
	s_mov_b32 s6, 0
                                        ; implicit-def: $sgpr5
                                        ; implicit-def: $sgpr7
                                        ; implicit-def: $sgpr8
                                        ; implicit-def: $sgpr9
	s_delay_alu instid0(VALU_DEP_1) | instskip(NEXT) | instid1(VALU_DEP_2)
	v_add_co_u32 v5, vcc_lo, s10, v5
	v_add_co_ci_u32_e32 v6, vcc_lo, s11, v6, vcc_lo
	global_load_b64 v[5:6], v[5:6], off
	s_waitcnt vmcnt(0)
	v_sub_co_u32 v5, vcc_lo, v5, s18
	v_subrev_co_ci_u32_e32 v6, vcc_lo, 0, v6, vcc_lo
	s_delay_alu instid0(VALU_DEP_2) | instskip(NEXT) | instid1(VALU_DEP_1)
	v_mul_lo_u32 v7, 0x4f, v5
	v_and_b32_e32 v9, 0xffff, v7
	s_branch .LBB54_27
.LBB54_25:                              ;   in Loop: Header=BB54_27 Depth=2
	s_or_b32 exec_lo, exec_lo, s15
	s_delay_alu instid0(SALU_CYCLE_1)
	s_and_not1_b32 s0, s8, exec_lo
	s_and_b32 s8, s14, exec_lo
	s_and_not1_b32 s7, s7, exec_lo
	s_and_b32 s9, s13, exec_lo
	s_or_b32 s8, s0, s8
	s_or_b32 s7, s7, s9
                                        ; implicit-def: $sgpr9
.LBB54_26:                              ;   in Loop: Header=BB54_27 Depth=2
	s_or_b32 exec_lo, exec_lo, s12
	s_xor_b32 s0, s7, -1
	s_delay_alu instid0(SALU_CYCLE_1) | instskip(NEXT) | instid1(SALU_CYCLE_1)
	s_and_b32 s0, exec_lo, s0
	s_or_b32 s6, s0, s6
	s_and_not1_b32 s0, s9, exec_lo
	s_and_b32 s12, s8, exec_lo
	s_and_not1_b32 s5, s5, exec_lo
	s_or_b32 s9, s0, s12
	s_or_b32 s5, s5, s12
	s_and_not1_b32 exec_lo, exec_lo, s6
	s_cbranch_execz .LBB54_23
.LBB54_27:                              ;   Parent Loop BB54_24 Depth=1
                                        ; =>  This Inner Loop Header: Depth=2
	s_delay_alu instid0(VALU_DEP_1)
	v_lshl_add_u32 v10, v9, 3, 0
	s_and_not1_b32 s8, s8, exec_lo
	s_and_not1_b32 s7, s7, exec_lo
	s_mov_b32 s12, exec_lo
	ds_load_b64 v[7:8], v10
	s_waitcnt lgkmcnt(0)
	v_cmpx_ne_u64_e64 v[7:8], v[5:6]
	s_cbranch_execz .LBB54_26
; %bb.28:                               ;   in Loop: Header=BB54_27 Depth=2
	s_mov_b32 s0, exec_lo
                                        ; implicit-def: $sgpr14
                                        ; implicit-def: $sgpr13
	v_cmpx_ne_u64_e32 -1, v[7:8]
	s_xor_b32 s0, exec_lo, s0
; %bb.29:                               ;   in Loop: Header=BB54_27 Depth=2
	v_add_nc_u32_e32 v7, 1, v9
	s_mov_b32 s13, -1
	s_and_b32 s14, s9, exec_lo
                                        ; implicit-def: $vgpr10
	s_delay_alu instid0(VALU_DEP_1)
	v_and_b32_e32 v9, 0xffff, v7
; %bb.30:                               ;   in Loop: Header=BB54_27 Depth=2
	s_and_not1_saveexec_b32 s15, s0
	s_cbranch_execz .LBB54_25
; %bb.31:                               ;   in Loop: Header=BB54_27 Depth=2
	v_mov_b32_e32 v7, -1
	v_mov_b32_e32 v8, -1
	s_and_not1_b32 s13, s13, exec_lo
	s_and_not1_b32 s14, s14, exec_lo
	ds_cmpstore_rtn_b64 v[7:8], v10, v[5:6], v[7:8]
	s_waitcnt lgkmcnt(0)
	v_cmp_eq_u64_e32 vcc_lo, -1, v[7:8]
	v_cmp_ne_u64_e64 s0, -1, v[7:8]
	s_or_b32 s9, vcc_lo, s9
	s_delay_alu instid0(VALU_DEP_1)
	s_and_b32 s0, s0, exec_lo
	s_and_b32 s9, s9, exec_lo
	s_or_b32 s13, s13, s0
	s_or_b32 s14, s14, s9
	s_branch .LBB54_25
.LBB54_32:
	s_or_b32 exec_lo, exec_lo, s4
.LBB54_33:
	s_delay_alu instid0(SALU_CYCLE_1)
	s_or_b32 exec_lo, exec_lo, s1
.LBB54_34:
	v_mbcnt_lo_u32_b32 v7, -1, 0
	s_mov_b32 s0, exec_lo
	s_barrier
	buffer_gl0_inv
	v_xor_b32_e32 v3, 16, v7
	v_xor_b32_e32 v4, 8, v7
	v_xor_b32_e32 v10, 1, v7
	s_delay_alu instid0(VALU_DEP_3) | instskip(SKIP_1) | instid1(VALU_DEP_4)
	v_cmp_gt_i32_e32 vcc_lo, 32, v3
	v_cndmask_b32_e32 v3, v7, v3, vcc_lo
	v_cmp_gt_i32_e32 vcc_lo, 32, v4
	v_cndmask_b32_e32 v4, v7, v4, vcc_lo
	s_delay_alu instid0(VALU_DEP_1) | instskip(NEXT) | instid1(VALU_DEP_4)
	v_lshlrev_b32_e32 v4, 2, v4
	v_lshlrev_b32_e32 v3, 2, v3
	ds_bpermute_b32 v5, v3, v1
	ds_bpermute_b32 v6, v3, v2
	s_waitcnt lgkmcnt(1)
	v_add_co_u32 v1, vcc_lo, v1, v5
	v_add_co_ci_u32_e32 v2, vcc_lo, 0, v2, vcc_lo
	v_xor_b32_e32 v5, 4, v7
	ds_bpermute_b32 v8, v4, v1
	v_add_co_u32 v1, vcc_lo, 0, v1
	s_waitcnt lgkmcnt(1)
	v_add_co_ci_u32_e32 v2, vcc_lo, v6, v2, vcc_lo
	v_cmp_gt_i32_e32 vcc_lo, 32, v5
	ds_bpermute_b32 v6, v4, v2
	v_cndmask_b32_e32 v5, v7, v5, vcc_lo
	s_delay_alu instid0(VALU_DEP_1)
	v_lshlrev_b32_e32 v5, 2, v5
	s_waitcnt lgkmcnt(1)
	v_add_co_u32 v1, vcc_lo, v1, v8
	v_add_co_ci_u32_e32 v2, vcc_lo, 0, v2, vcc_lo
	ds_bpermute_b32 v8, v5, v1
	v_add_co_u32 v1, vcc_lo, v1, 0
	s_waitcnt lgkmcnt(1)
	v_add_co_ci_u32_e32 v2, vcc_lo, v2, v6, vcc_lo
	v_xor_b32_e32 v6, 2, v7
	ds_bpermute_b32 v9, v5, v2
	v_cmp_gt_i32_e32 vcc_lo, 32, v6
	v_cndmask_b32_e32 v6, v7, v6, vcc_lo
	s_delay_alu instid0(VALU_DEP_1)
	v_lshlrev_b32_e32 v6, 2, v6
	s_waitcnt lgkmcnt(1)
	v_add_co_u32 v1, vcc_lo, v1, v8
	v_add_co_ci_u32_e32 v2, vcc_lo, 0, v2, vcc_lo
	ds_bpermute_b32 v8, v6, v1
	v_add_co_u32 v1, vcc_lo, v1, 0
	s_waitcnt lgkmcnt(1)
	v_add_co_ci_u32_e32 v2, vcc_lo, v2, v9, vcc_lo
	v_cmp_gt_i32_e32 vcc_lo, 32, v10
	ds_bpermute_b32 v9, v6, v2
	v_cndmask_b32_e32 v7, v7, v10, vcc_lo
	s_delay_alu instid0(VALU_DEP_1) | instskip(SKIP_3) | instid1(VALU_DEP_2)
	v_lshlrev_b32_e32 v7, 2, v7
	s_waitcnt lgkmcnt(1)
	v_add_co_u32 v1, vcc_lo, v1, v8
	v_add_co_ci_u32_e32 v8, vcc_lo, 0, v2, vcc_lo
	v_add_co_u32 v2, vcc_lo, v1, 0
	s_waitcnt lgkmcnt(0)
	s_delay_alu instid0(VALU_DEP_2)
	v_add_co_ci_u32_e32 v8, vcc_lo, v8, v9, vcc_lo
	ds_bpermute_b32 v9, v7, v1
	ds_bpermute_b32 v1, v7, v8
	v_cmpx_eq_u32_e32 31, v14
	s_cbranch_execz .LBB54_36
; %bb.35:
	s_waitcnt lgkmcnt(1)
	v_add_co_u32 v2, vcc_lo, v2, v9
	v_add_co_ci_u32_e32 v9, vcc_lo, 0, v8, vcc_lo
	v_lshl_add_u32 v10, v13, 3, 0
	s_delay_alu instid0(VALU_DEP_3) | instskip(SKIP_1) | instid1(VALU_DEP_3)
	v_add_co_u32 v8, vcc_lo, v2, 0
	s_waitcnt lgkmcnt(0)
	v_add_co_ci_u32_e32 v9, vcc_lo, v9, v1, vcc_lo
	ds_store_b64 v10, v[8:9]
.LBB54_36:
	s_or_b32 exec_lo, exec_lo, s0
	s_waitcnt lgkmcnt(0)
	v_mov_b32_e32 v1, 0
	v_mov_b32_e32 v2, 0
	s_mov_b32 s0, exec_lo
	s_barrier
	buffer_gl0_inv
	v_cmpx_gt_u32_e32 32, v0
	s_cbranch_execz .LBB54_38
; %bb.37:
	v_lshl_add_u32 v1, v0, 3, 0
	ds_load_b64 v[1:2], v1
.LBB54_38:
	s_or_b32 exec_lo, exec_lo, s0
	s_waitcnt lgkmcnt(0)
	ds_bpermute_b32 v8, v3, v1
	ds_bpermute_b32 v3, v3, v2
	s_mov_b32 s0, exec_lo
	s_waitcnt lgkmcnt(1)
	v_add_co_u32 v1, vcc_lo, v1, v8
	v_add_co_ci_u32_e32 v2, vcc_lo, 0, v2, vcc_lo
	ds_bpermute_b32 v8, v4, v1
	v_add_co_u32 v1, vcc_lo, 0, v1
	s_waitcnt lgkmcnt(1)
	v_add_co_ci_u32_e32 v2, vcc_lo, v3, v2, vcc_lo
	ds_bpermute_b32 v3, v4, v2
	s_waitcnt lgkmcnt(1)
	v_add_co_u32 v1, vcc_lo, v1, v8
	v_add_co_ci_u32_e32 v2, vcc_lo, 0, v2, vcc_lo
	ds_bpermute_b32 v4, v5, v1
	v_add_co_u32 v1, vcc_lo, v1, 0
	s_waitcnt lgkmcnt(1)
	v_add_co_ci_u32_e32 v2, vcc_lo, v2, v3, vcc_lo
	ds_bpermute_b32 v3, v5, v2
	;; [unrolled: 8-line block ×3, first 2 shown]
	s_waitcnt lgkmcnt(1)
	v_add_co_u32 v1, vcc_lo, v1, v4
	v_add_co_ci_u32_e32 v4, vcc_lo, 0, v2, vcc_lo
	s_delay_alu instid0(VALU_DEP_2) | instskip(SKIP_1) | instid1(VALU_DEP_2)
	v_add_co_u32 v2, vcc_lo, v1, 0
	s_waitcnt lgkmcnt(0)
	v_add_co_ci_u32_e32 v3, vcc_lo, v4, v3, vcc_lo
	ds_bpermute_b32 v4, v7, v1
	ds_bpermute_b32 v1, v7, v3
	v_cmpx_eq_u32_e32 31, v0
	s_cbranch_execz .LBB54_40
; %bb.39:
	s_waitcnt lgkmcnt(1)
	v_add_co_u32 v0, vcc_lo, v2, v4
	v_add_co_ci_u32_e32 v2, vcc_lo, 0, v3, vcc_lo
	s_lshl_b64 s[0:1], s[22:23], 3
	s_delay_alu instid0(VALU_DEP_2)
	v_add_co_u32 v0, vcc_lo, v0, 0
	v_mov_b32_e32 v3, 0
	s_waitcnt lgkmcnt(0)
	v_add_co_ci_u32_e32 v1, vcc_lo, v2, v1, vcc_lo
	s_add_u32 s0, s20, s0
	s_addc_u32 s1, s21, s1
	global_store_b64 v3, v[0:1], s[0:1]
.LBB54_40:
	s_nop 0
	s_sendmsg sendmsg(MSG_DEALLOC_VGPRS)
	s_endpgm
	.section	.rodata,"a",@progbits
	.p2align	6, 0x0
	.amdhsa_kernel _ZN9rocsparseL25csrgemm_nnz_block_per_rowILj1024ELj32ELj65536ELj79EllEEvPKT4_S3_PKT3_S3_S6_S3_S6_S3_PS4_21rocsparse_index_base_S8_S8_bb
		.amdhsa_group_segment_fixed_size 0
		.amdhsa_private_segment_fixed_size 0
		.amdhsa_kernarg_size 88
		.amdhsa_user_sgpr_count 15
		.amdhsa_user_sgpr_dispatch_ptr 0
		.amdhsa_user_sgpr_queue_ptr 0
		.amdhsa_user_sgpr_kernarg_segment_ptr 1
		.amdhsa_user_sgpr_dispatch_id 0
		.amdhsa_user_sgpr_private_segment_size 0
		.amdhsa_wavefront_size32 1
		.amdhsa_uses_dynamic_stack 0
		.amdhsa_enable_private_segment 0
		.amdhsa_system_sgpr_workgroup_id_x 1
		.amdhsa_system_sgpr_workgroup_id_y 0
		.amdhsa_system_sgpr_workgroup_id_z 0
		.amdhsa_system_sgpr_workgroup_info 0
		.amdhsa_system_vgpr_workitem_id 0
		.amdhsa_next_free_vgpr 19
		.amdhsa_next_free_sgpr 36
		.amdhsa_reserve_vcc 1
		.amdhsa_float_round_mode_32 0
		.amdhsa_float_round_mode_16_64 0
		.amdhsa_float_denorm_mode_32 3
		.amdhsa_float_denorm_mode_16_64 3
		.amdhsa_dx10_clamp 1
		.amdhsa_ieee_mode 1
		.amdhsa_fp16_overflow 0
		.amdhsa_workgroup_processor_mode 1
		.amdhsa_memory_ordered 1
		.amdhsa_forward_progress 0
		.amdhsa_shared_vgpr_count 0
		.amdhsa_exception_fp_ieee_invalid_op 0
		.amdhsa_exception_fp_denorm_src 0
		.amdhsa_exception_fp_ieee_div_zero 0
		.amdhsa_exception_fp_ieee_overflow 0
		.amdhsa_exception_fp_ieee_underflow 0
		.amdhsa_exception_fp_ieee_inexact 0
		.amdhsa_exception_int_div_zero 0
	.end_amdhsa_kernel
	.section	.text._ZN9rocsparseL25csrgemm_nnz_block_per_rowILj1024ELj32ELj65536ELj79EllEEvPKT4_S3_PKT3_S3_S6_S3_S6_S3_PS4_21rocsparse_index_base_S8_S8_bb,"axG",@progbits,_ZN9rocsparseL25csrgemm_nnz_block_per_rowILj1024ELj32ELj65536ELj79EllEEvPKT4_S3_PKT3_S3_S6_S3_S6_S3_PS4_21rocsparse_index_base_S8_S8_bb,comdat
.Lfunc_end54:
	.size	_ZN9rocsparseL25csrgemm_nnz_block_per_rowILj1024ELj32ELj65536ELj79EllEEvPKT4_S3_PKT3_S3_S6_S3_S6_S3_PS4_21rocsparse_index_base_S8_S8_bb, .Lfunc_end54-_ZN9rocsparseL25csrgemm_nnz_block_per_rowILj1024ELj32ELj65536ELj79EllEEvPKT4_S3_PKT3_S3_S6_S3_S6_S3_PS4_21rocsparse_index_base_S8_S8_bb
                                        ; -- End function
	.section	.AMDGPU.csdata,"",@progbits
; Kernel info:
; codeLenInByte = 2200
; NumSgprs: 38
; NumVgprs: 19
; ScratchSize: 0
; MemoryBound: 0
; FloatMode: 240
; IeeeMode: 1
; LDSByteSize: 0 bytes/workgroup (compile time only)
; SGPRBlocks: 4
; VGPRBlocks: 2
; NumSGPRsForWavesPerEU: 38
; NumVGPRsForWavesPerEU: 19
; Occupancy: 16
; WaveLimiterHint : 1
; COMPUTE_PGM_RSRC2:SCRATCH_EN: 0
; COMPUTE_PGM_RSRC2:USER_SGPR: 15
; COMPUTE_PGM_RSRC2:TRAP_HANDLER: 0
; COMPUTE_PGM_RSRC2:TGID_X_EN: 1
; COMPUTE_PGM_RSRC2:TGID_Y_EN: 0
; COMPUTE_PGM_RSRC2:TGID_Z_EN: 0
; COMPUTE_PGM_RSRC2:TIDIG_COMP_CNT: 0
	.section	.text._ZN9rocsparseL35csrgemm_nnz_block_per_row_multipassILj512ELj16ELj2048EllEEvT3_PKS1_S3_PKT2_S3_S6_S3_S6_S3_PS4_S7_21rocsparse_index_base_S8_S8_bb,"axG",@progbits,_ZN9rocsparseL35csrgemm_nnz_block_per_row_multipassILj512ELj16ELj2048EllEEvT3_PKS1_S3_PKT2_S3_S6_S3_S6_S3_PS4_S7_21rocsparse_index_base_S8_S8_bb,comdat
	.globl	_ZN9rocsparseL35csrgemm_nnz_block_per_row_multipassILj512ELj16ELj2048EllEEvT3_PKS1_S3_PKT2_S3_S6_S3_S6_S3_PS4_S7_21rocsparse_index_base_S8_S8_bb ; -- Begin function _ZN9rocsparseL35csrgemm_nnz_block_per_row_multipassILj512ELj16ELj2048EllEEvT3_PKS1_S3_PKT2_S3_S6_S3_S6_S3_PS4_S7_21rocsparse_index_base_S8_S8_bb
	.p2align	8
	.type	_ZN9rocsparseL35csrgemm_nnz_block_per_row_multipassILj512ELj16ELj2048EllEEvT3_PKS1_S3_PKT2_S3_S6_S3_S6_S3_PS4_S7_21rocsparse_index_base_S8_S8_bb,@function
_ZN9rocsparseL35csrgemm_nnz_block_per_row_multipassILj512ELj16ELj2048EllEEvT3_PKS1_S3_PKT2_S3_S6_S3_S6_S3_PS4_S7_21rocsparse_index_base_S8_S8_bb: ; @_ZN9rocsparseL35csrgemm_nnz_block_per_row_multipassILj512ELj16ELj2048EllEEvT3_PKS1_S3_PKT2_S3_S6_S3_S6_S3_PS4_S7_21rocsparse_index_base_S8_S8_bb
; %bb.0:
	s_clause 0x1
	s_load_b128 s[4:7], s[0:1], 0x8
	s_load_b64 s[8:9], s[0:1], 0x18
	s_mov_b32 s2, s15
	s_mov_b32 s3, 0
	s_waitcnt lgkmcnt(0)
	s_load_b64 s[4:5], s[4:5], 0x0
	s_waitcnt lgkmcnt(0)
	s_lshl_b64 s[4:5], s[4:5], 3
	s_delay_alu instid0(SALU_CYCLE_1)
	s_add_u32 s6, s6, s4
	s_addc_u32 s7, s7, s5
	s_lshl_b64 s[4:5], s[2:3], 3
	v_cmp_eq_u32_e64 s2, 0, v0
	s_add_u32 s4, s6, s4
	s_addc_u32 s5, s7, s5
	s_delay_alu instid0(VALU_DEP_1)
	s_and_saveexec_b32 s3, s2
	s_cbranch_execz .LBB55_2
; %bb.1:
	v_mov_b32_e32 v1, 0
	s_delay_alu instid0(VALU_DEP_1)
	v_mov_b32_e32 v2, v1
	ds_store_b64 v1, v[1:2] offset:2056
.LBB55_2:
	s_or_b32 exec_lo, exec_lo, s3
	s_load_b128 s[16:19], s[0:1], 0x58
	s_load_b64 s[6:7], s[4:5], 0x0
	s_mov_b64 s[20:21], 0
	s_mov_b64 s[4:5], 0
	s_waitcnt lgkmcnt(0)
	s_bitcmp1_b32 s19, 0
	s_cselect_b32 s28, -1, 0
	s_bitcmp0_b32 s19, 0
	s_cbranch_scc0 .LBB55_5
; %bb.3:
	s_and_not1_b32 vcc_lo, exec_lo, s28
	s_cbranch_vccz .LBB55_6
.LBB55_4:
	s_load_b64 s[22:23], s[0:1], 0x0
	s_waitcnt lgkmcnt(0)
	v_cmp_lt_i64_e64 s3, s[22:23], 1
	s_delay_alu instid0(VALU_DEP_1)
	s_and_b32 vcc_lo, exec_lo, s3
	s_cbranch_vccz .LBB55_7
	s_branch .LBB55_68
.LBB55_5:
	s_lshl_b64 s[4:5], s[6:7], 3
	s_delay_alu instid0(SALU_CYCLE_1)
	s_add_u32 s4, s8, s4
	s_addc_u32 s5, s9, s5
	s_load_b64 s[4:5], s[4:5], 0x0
	s_waitcnt lgkmcnt(0)
	s_sub_u32 s4, s4, s16
	s_subb_u32 s5, s5, 0
	s_and_not1_b32 vcc_lo, exec_lo, s28
	s_cbranch_vccnz .LBB55_4
.LBB55_6:
	s_lshl_b64 s[10:11], s[6:7], 3
	s_delay_alu instid0(SALU_CYCLE_1)
	s_add_u32 s8, s8, s10
	s_addc_u32 s9, s9, s11
	s_load_b64 s[8:9], s[8:9], 0x8
	s_waitcnt lgkmcnt(0)
	s_sub_u32 s20, s8, s16
	s_subb_u32 s21, s9, 0
	s_load_b64 s[22:23], s[0:1], 0x0
	s_waitcnt lgkmcnt(0)
	v_cmp_lt_i64_e64 s3, s[22:23], 1
	s_delay_alu instid0(VALU_DEP_1)
	s_and_b32 vcc_lo, exec_lo, s3
	s_cbranch_vccnz .LBB55_68
.LBB55_7:
	v_mbcnt_lo_u32_b32 v3, -1, 0
	v_lshrrev_b32_e32 v1, 4, v0
	s_clause 0x3
	s_load_b32 s19, s[0:1], 0x64
	s_load_b256 s[8:15], s[0:1], 0x20
	s_load_b64 s[24:25], s[0:1], 0x50
	s_load_b64 s[26:27], s[0:1], 0x40
	v_dual_mov_b32 v28, 0 :: v_dual_and_b32 v27, 15, v0
	v_xor_b32_e32 v4, 8, v3
	v_add_co_u32 v1, s3, s4, v1
	v_xor_b32_e32 v5, 4, v3
	v_xor_b32_e32 v6, 2, v3
	s_delay_alu instid0(VALU_DEP_4) | instskip(SKIP_3) | instid1(VALU_DEP_4)
	v_cmp_gt_i32_e64 s4, 32, v4
	v_xor_b32_e32 v7, 1, v3
	v_add_co_ci_u32_e64 v2, null, s5, 0, s3
	v_cmp_eq_u32_e64 s3, 15, v27
	v_cndmask_b32_e64 v4, v3, v4, s4
	v_cmp_gt_i32_e64 s4, 32, v5
	s_delay_alu instid0(VALU_DEP_4)
	v_cmp_gt_i64_e32 vcc_lo, s[20:21], v[1:2]
	v_or_b32_e32 v35, 0xfffffe00, v0
	s_waitcnt lgkmcnt(0)
	s_bitcmp1_b32 s19, 8
	v_lshlrev_b32_e32 v31, 2, v4
	v_cndmask_b32_e64 v5, v3, v5, s4
	v_cmp_gt_i32_e64 s4, 32, v6
	s_cselect_b32 s19, -1, 0
	s_lshl_b64 s[30:31], s[6:7], 3
	v_mov_b32_e32 v36, 1
	v_lshlrev_b32_e32 v32, 2, v5
	v_cndmask_b32_e64 v6, v3, v6, s4
	v_cmp_gt_i32_e64 s4, 32, v7
	s_add_u32 s14, s14, s30
	s_addc_u32 s15, s15, s31
	s_and_b32 s30, s28, vcc_lo
	v_lshlrev_b32_e32 v33, 2, v6
	v_cndmask_b32_e64 v3, v3, v7, s4
	v_sub_co_u32 v29, s4, v0, s18
	v_mov_b32_e32 v5, 0x800
	v_mov_b32_e32 v6, 0
	s_delay_alu instid0(VALU_DEP_4)
	v_dual_mov_b32 v3, 0 :: v_dual_lshlrev_b32 v34, 2, v3
	v_sub_co_ci_u32_e64 v30, null, 0, 0, s4
	v_mov_b32_e32 v4, 0
	s_add_u32 s31, s10, 8
	s_addc_u32 s33, s11, 0
	s_mov_b32 s34, -1
	s_branch .LBB55_9
.LBB55_8:                               ;   in Loop: Header=BB55_9 Depth=1
	s_or_b32 exec_lo, exec_lo, s28
	s_waitcnt lgkmcnt(0)
	s_barrier
	buffer_gl0_inv
	ds_load_b64 v[3:4], v28 offset:2048
	s_waitcnt lgkmcnt(0)
	s_barrier
	buffer_gl0_inv
	v_cmp_gt_i64_e32 vcc_lo, s[22:23], v[3:4]
	v_add_co_u32 v5, s4, 0x800, v3
	s_delay_alu instid0(VALU_DEP_1)
	v_add_co_ci_u32_e64 v6, s4, 0, v4, s4
	s_cbranch_vccz .LBB55_68
.LBB55_9:                               ; =>This Loop Header: Depth=1
                                        ;     Child Loop BB55_18 Depth 2
                                        ;       Child Loop BB55_26 Depth 3
                                        ;     Child Loop BB55_46 Depth 2
                                        ;     Child Loop BB55_58 Depth 2
	;; [unrolled: 1-line block ×4, first 2 shown]
	s_and_saveexec_b32 s4, s34
	s_cbranch_execnz .LBB55_37
; %bb.10:                               ;   in Loop: Header=BB55_9 Depth=1
	s_or_b32 exec_lo, exec_lo, s4
	s_and_saveexec_b32 s4, s34
	s_cbranch_execnz .LBB55_38
.LBB55_11:                              ;   in Loop: Header=BB55_9 Depth=1
	s_or_b32 exec_lo, exec_lo, s4
	s_and_saveexec_b32 s4, s34
	s_cbranch_execnz .LBB55_39
.LBB55_12:                              ;   in Loop: Header=BB55_9 Depth=1
	s_or_b32 exec_lo, exec_lo, s4
	s_and_saveexec_b32 s4, s34
	s_cbranch_execnz .LBB55_40
.LBB55_13:                              ;   in Loop: Header=BB55_9 Depth=1
	s_or_b32 exec_lo, exec_lo, s4
	s_and_saveexec_b32 s4, s2
	s_cbranch_execz .LBB55_15
.LBB55_14:                              ;   in Loop: Header=BB55_9 Depth=1
	v_dual_mov_b32 v7, s22 :: v_dual_mov_b32 v8, s23
	ds_store_b64 v28, v[7:8] offset:2048
.LBB55_15:                              ;   in Loop: Header=BB55_9 Depth=1
	s_or_b32 exec_lo, exec_lo, s4
	v_dual_mov_b32 v7, s22 :: v_dual_mov_b32 v8, s23
	s_waitcnt lgkmcnt(0)
	s_barrier
	buffer_gl0_inv
	s_and_saveexec_b32 s28, s30
	s_cbranch_execz .LBB55_42
; %bb.16:                               ;   in Loop: Header=BB55_9 Depth=1
	v_cmp_ne_u64_e64 s4, 0, v[3:4]
	v_dual_mov_b32 v7, s22 :: v_dual_mov_b32 v8, s23
	v_dual_mov_b32 v10, v2 :: v_dual_mov_b32 v9, v1
	s_mov_b32 s29, 0
	s_branch .LBB55_18
.LBB55_17:                              ;   in Loop: Header=BB55_18 Depth=2
	s_or_b32 exec_lo, exec_lo, s35
	v_add_co_u32 v9, vcc_lo, v9, 32
	v_add_co_ci_u32_e32 v10, vcc_lo, 0, v10, vcc_lo
	s_delay_alu instid0(VALU_DEP_1) | instskip(SKIP_1) | instid1(SALU_CYCLE_1)
	v_cmp_le_i64_e32 vcc_lo, s[20:21], v[9:10]
	s_or_b32 s29, vcc_lo, s29
	s_and_not1_b32 exec_lo, exec_lo, s29
	s_cbranch_execz .LBB55_41
.LBB55_18:                              ;   Parent Loop BB55_9 Depth=1
                                        ; =>  This Loop Header: Depth=2
                                        ;       Child Loop BB55_26 Depth 3
	s_delay_alu instid0(VALU_DEP_1) | instskip(NEXT) | instid1(VALU_DEP_1)
	v_lshlrev_b64 v[11:12], 3, v[9:10]
	v_add_co_u32 v13, vcc_lo, s8, v11
	s_delay_alu instid0(VALU_DEP_2)
	v_add_co_ci_u32_e32 v14, vcc_lo, s9, v12, vcc_lo
	s_and_b32 vcc_lo, exec_lo, s4
	s_waitcnt lgkmcnt(0)
	global_load_b64 v[15:16], v[13:14], off
	s_cbranch_vccz .LBB55_20
; %bb.19:                               ;   in Loop: Header=BB55_18 Depth=2
	v_add_co_u32 v13, vcc_lo, s24, v11
	v_add_co_ci_u32_e32 v14, vcc_lo, s25, v12, vcc_lo
	s_mov_b32 s5, 0
	global_load_b64 v[13:14], v[13:14], off
	s_branch .LBB55_21
.LBB55_20:                              ;   in Loop: Header=BB55_18 Depth=2
	s_mov_b32 s5, -1
                                        ; implicit-def: $vgpr13_vgpr14
.LBB55_21:                              ;   in Loop: Header=BB55_18 Depth=2
	s_waitcnt vmcnt(0)
	v_sub_co_u32 v15, vcc_lo, v15, s16
	v_subrev_co_ci_u32_e32 v16, vcc_lo, 0, v16, vcc_lo
	s_and_not1_b32 vcc_lo, exec_lo, s5
	s_delay_alu instid0(VALU_DEP_1)
	v_lshlrev_b64 v[15:16], 3, v[15:16]
	s_cbranch_vccnz .LBB55_23
; %bb.22:                               ;   in Loop: Header=BB55_18 Depth=2
	s_delay_alu instid0(VALU_DEP_1) | instskip(NEXT) | instid1(VALU_DEP_2)
	v_add_co_u32 v13, vcc_lo, s10, v15
	v_add_co_ci_u32_e32 v14, vcc_lo, s11, v16, vcc_lo
	global_load_b64 v[13:14], v[13:14], off
	s_waitcnt vmcnt(0)
	v_sub_co_u32 v13, vcc_lo, v13, s17
	v_subrev_co_ci_u32_e32 v14, vcc_lo, 0, v14, vcc_lo
.LBB55_23:                              ;   in Loop: Header=BB55_18 Depth=2
	s_delay_alu instid0(VALU_DEP_1) | instskip(NEXT) | instid1(VALU_DEP_2)
	v_add_co_u32 v15, vcc_lo, s31, v15
	v_add_co_ci_u32_e32 v16, vcc_lo, s33, v16, vcc_lo
	s_mov_b32 s35, exec_lo
	global_load_b64 v[15:16], v[15:16], off
	s_waitcnt vmcnt(0)
	v_sub_co_u32 v15, vcc_lo, v15, s17
	v_subrev_co_ci_u32_e32 v16, vcc_lo, 0, v16, vcc_lo
	v_add_co_u32 v13, vcc_lo, v13, v27
	v_add_co_ci_u32_e32 v14, vcc_lo, 0, v14, vcc_lo
	s_delay_alu instid0(VALU_DEP_1)
	v_cmpx_lt_i64_e64 v[13:14], v[15:16]
	s_cbranch_execz .LBB55_35
; %bb.24:                               ;   in Loop: Header=BB55_18 Depth=2
	v_lshlrev_b64 v[17:18], 3, v[13:14]
	v_dual_mov_b32 v22, v14 :: v_dual_mov_b32 v21, v13
	s_mov_b32 s37, 0
                                        ; implicit-def: $sgpr36
                                        ; implicit-def: $sgpr38
	s_delay_alu instid0(VALU_DEP_2) | instskip(NEXT) | instid1(VALU_DEP_3)
	v_add_co_u32 v17, vcc_lo, s12, v17
	v_add_co_ci_u32_e32 v18, vcc_lo, s13, v18, vcc_lo
	s_branch .LBB55_26
.LBB55_25:                              ;   in Loop: Header=BB55_26 Depth=3
	s_or_b32 exec_lo, exec_lo, s39
	s_delay_alu instid0(SALU_CYCLE_1) | instskip(SKIP_4) | instid1(SALU_CYCLE_1)
	s_and_b32 s5, exec_lo, s40
	v_dual_mov_b32 v21, v25 :: v_dual_mov_b32 v22, v26
	s_or_b32 s37, s5, s37
	s_and_not1_b32 s5, s36, exec_lo
	s_and_b32 s36, s38, exec_lo
	s_or_b32 s36, s5, s36
	s_and_not1_b32 exec_lo, exec_lo, s37
	s_cbranch_execz .LBB55_32
.LBB55_26:                              ;   Parent Loop BB55_9 Depth=1
                                        ;     Parent Loop BB55_18 Depth=2
                                        ; =>    This Inner Loop Header: Depth=3
	global_load_b64 v[19:20], v[17:18], off
	s_waitcnt vmcnt(0)
	v_sub_co_u32 v19, vcc_lo, v19, s17
	v_subrev_co_ci_u32_e32 v20, vcc_lo, 0, v20, vcc_lo
	s_delay_alu instid0(VALU_DEP_1)
	v_cmp_lt_i64_e32 vcc_lo, v[19:20], v[5:6]
	v_cmp_lt_i64_e64 s5, v[19:20], v[3:4]
	s_xor_b32 s39, vcc_lo, -1
	s_delay_alu instid0(VALU_DEP_1) | instid1(SALU_CYCLE_1)
	s_or_b32 s40, s5, s39
	s_mov_b32 s5, 0
                                        ; implicit-def: $sgpr39
	s_and_saveexec_b32 s41, s40
	s_delay_alu instid0(SALU_CYCLE_1)
	s_xor_b32 s40, exec_lo, s41
; %bb.27:                               ;   in Loop: Header=BB55_26 Depth=3
	s_mov_b32 s39, -1
	s_and_b32 s5, vcc_lo, exec_lo
; %bb.28:                               ;   in Loop: Header=BB55_26 Depth=3
	s_and_not1_saveexec_b32 s40, s40
	s_cbranch_execz .LBB55_30
; %bb.29:                               ;   in Loop: Header=BB55_26 Depth=3
	v_sub_nc_u32_e32 v23, v19, v3
	s_or_b32 s5, s5, exec_lo
	ds_store_b8 v23, v36
.LBB55_30:                              ;   in Loop: Header=BB55_26 Depth=3
	s_or_b32 exec_lo, exec_lo, s40
	v_dual_mov_b32 v24, v22 :: v_dual_mov_b32 v23, v21
	s_and_not1_b32 s38, s38, exec_lo
	s_and_b32 s39, s39, exec_lo
	s_mov_b32 s40, -1
	s_or_b32 s38, s38, s39
                                        ; implicit-def: $vgpr25_vgpr26
	s_and_saveexec_b32 s39, s5
	s_cbranch_execz .LBB55_25
; %bb.31:                               ;   in Loop: Header=BB55_26 Depth=3
	v_add_co_u32 v25, vcc_lo, v21, 16
	v_add_co_ci_u32_e32 v26, vcc_lo, 0, v22, vcc_lo
	v_add_co_u32 v17, s5, 0x80, v17
	s_delay_alu instid0(VALU_DEP_1) | instskip(NEXT) | instid1(VALU_DEP_3)
	v_add_co_ci_u32_e64 v18, s5, 0, v18, s5
	v_cmp_ge_i64_e32 vcc_lo, v[25:26], v[15:16]
	v_dual_mov_b32 v24, v22 :: v_dual_mov_b32 v23, v21
	s_and_not1_b32 s38, s38, exec_lo
	s_or_not1_b32 s40, vcc_lo, exec_lo
	s_branch .LBB55_25
.LBB55_32:                              ;   in Loop: Header=BB55_18 Depth=2
	s_or_b32 exec_lo, exec_lo, s37
	s_and_saveexec_b32 s5, s36
	s_delay_alu instid0(SALU_CYCLE_1)
	s_xor_b32 s5, exec_lo, s5
; %bb.33:                               ;   in Loop: Header=BB55_18 Depth=2
	v_cmp_lt_i64_e32 vcc_lo, v[19:20], v[7:8]
	v_dual_mov_b32 v13, v23 :: v_dual_mov_b32 v14, v24
	v_dual_cndmask_b32 v8, v8, v20 :: v_dual_cndmask_b32 v7, v7, v19
; %bb.34:                               ;   in Loop: Header=BB55_18 Depth=2
	s_or_b32 exec_lo, exec_lo, s5
.LBB55_35:                              ;   in Loop: Header=BB55_18 Depth=2
	s_delay_alu instid0(SALU_CYCLE_1)
	s_or_b32 exec_lo, exec_lo, s35
	ds_bpermute_b32 v15, v31, v13
	ds_bpermute_b32 v16, v31, v14
	s_waitcnt lgkmcnt(0)
	v_cmp_lt_i64_e32 vcc_lo, v[15:16], v[13:14]
	v_dual_cndmask_b32 v14, v14, v16 :: v_dual_cndmask_b32 v13, v13, v15
	ds_bpermute_b32 v16, v32, v14
	ds_bpermute_b32 v15, v32, v13
	s_waitcnt lgkmcnt(0)
	v_cmp_lt_i64_e32 vcc_lo, v[15:16], v[13:14]
	v_dual_cndmask_b32 v14, v14, v16 :: v_dual_cndmask_b32 v13, v13, v15
	;; [unrolled: 5-line block ×3, first 2 shown]
	ds_bpermute_b32 v16, v34, v14
	ds_bpermute_b32 v15, v34, v13
	s_and_saveexec_b32 s35, s3
	s_cbranch_execz .LBB55_17
; %bb.36:                               ;   in Loop: Header=BB55_18 Depth=2
	s_waitcnt lgkmcnt(0)
	v_cmp_lt_i64_e32 vcc_lo, v[15:16], v[13:14]
	v_add_co_u32 v11, s5, s24, v11
	s_delay_alu instid0(VALU_DEP_1)
	v_add_co_ci_u32_e64 v12, s5, s25, v12, s5
	v_dual_cndmask_b32 v14, v14, v16 :: v_dual_cndmask_b32 v13, v13, v15
	global_store_b64 v[11:12], v[13:14], off
	s_branch .LBB55_17
.LBB55_37:                              ;   in Loop: Header=BB55_9 Depth=1
	ds_store_b8 v0, v28
	s_or_b32 exec_lo, exec_lo, s4
	s_and_saveexec_b32 s4, s34
	s_cbranch_execz .LBB55_11
.LBB55_38:                              ;   in Loop: Header=BB55_9 Depth=1
	ds_store_b8 v0, v28 offset:512
	s_or_b32 exec_lo, exec_lo, s4
	s_and_saveexec_b32 s4, s34
	s_cbranch_execz .LBB55_12
.LBB55_39:                              ;   in Loop: Header=BB55_9 Depth=1
	ds_store_b8 v0, v28 offset:1024
	s_or_b32 exec_lo, exec_lo, s4
	s_and_saveexec_b32 s4, s34
	s_cbranch_execz .LBB55_13
.LBB55_40:                              ;   in Loop: Header=BB55_9 Depth=1
	ds_store_b8 v0, v28 offset:1536
	s_or_b32 exec_lo, exec_lo, s4
	s_and_saveexec_b32 s4, s2
	s_cbranch_execnz .LBB55_14
	s_branch .LBB55_15
.LBB55_41:                              ;   in Loop: Header=BB55_9 Depth=1
	s_or_b32 exec_lo, exec_lo, s29
.LBB55_42:                              ;   in Loop: Header=BB55_9 Depth=1
	s_delay_alu instid0(SALU_CYCLE_1) | instskip(NEXT) | instid1(SALU_CYCLE_1)
	s_or_b32 exec_lo, exec_lo, s28
	s_and_not1_b32 vcc_lo, exec_lo, s19
	s_cbranch_vccnz .LBB55_56
; %bb.43:                               ;   in Loop: Header=BB55_9 Depth=1
	s_load_b128 s[36:39], s[14:15], 0x0
	s_mov_b32 s5, exec_lo
	s_waitcnt lgkmcnt(0)
	v_add_co_u32 v9, vcc_lo, v29, s36
	v_add_co_ci_u32_e32 v10, vcc_lo, s37, v30, vcc_lo
	s_sub_u32 s28, s38, s18
	s_subb_u32 s29, s39, 0
	s_delay_alu instid0(VALU_DEP_1) | instid1(SALU_CYCLE_1)
	v_cmpx_gt_i64_e64 s[28:29], v[9:10]
	s_cbranch_execz .LBB55_55
; %bb.44:                               ;   in Loop: Header=BB55_9 Depth=1
	v_lshlrev_b64 v[11:12], 3, v[9:10]
	s_mov_b32 s35, 0
                                        ; implicit-def: $sgpr36
                                        ; implicit-def: $sgpr37
	s_delay_alu instid0(VALU_DEP_1) | instskip(NEXT) | instid1(VALU_DEP_2)
	v_add_co_u32 v11, vcc_lo, s26, v11
	v_add_co_ci_u32_e32 v12, vcc_lo, s27, v12, vcc_lo
	s_branch .LBB55_46
.LBB55_45:                              ;   in Loop: Header=BB55_46 Depth=2
	s_or_b32 exec_lo, exec_lo, s39
	s_delay_alu instid0(SALU_CYCLE_1) | instskip(NEXT) | instid1(SALU_CYCLE_1)
	s_and_b32 s4, exec_lo, s38
	s_or_b32 s35, s4, s35
	s_and_not1_b32 s4, s36, exec_lo
	s_and_b32 s36, s37, exec_lo
	s_delay_alu instid0(SALU_CYCLE_1)
	s_or_b32 s36, s4, s36
	s_and_not1_b32 exec_lo, exec_lo, s35
	s_cbranch_execz .LBB55_52
.LBB55_46:                              ;   Parent Loop BB55_9 Depth=1
                                        ; =>  This Inner Loop Header: Depth=2
	global_load_b64 v[13:14], v[11:12], off
	s_waitcnt vmcnt(0)
	v_sub_co_u32 v13, vcc_lo, v13, s18
	v_subrev_co_ci_u32_e32 v14, vcc_lo, 0, v14, vcc_lo
	s_delay_alu instid0(VALU_DEP_1)
	v_cmp_lt_i64_e32 vcc_lo, v[13:14], v[5:6]
	v_cmp_lt_i64_e64 s4, v[13:14], v[3:4]
	s_xor_b32 s38, vcc_lo, -1
	s_delay_alu instid0(VALU_DEP_1) | instid1(SALU_CYCLE_1)
	s_or_b32 s39, s4, s38
	s_mov_b32 s4, 0
                                        ; implicit-def: $sgpr38
	s_and_saveexec_b32 s40, s39
	s_delay_alu instid0(SALU_CYCLE_1)
	s_xor_b32 s39, exec_lo, s40
; %bb.47:                               ;   in Loop: Header=BB55_46 Depth=2
	s_mov_b32 s38, -1
	s_and_b32 s4, vcc_lo, exec_lo
; %bb.48:                               ;   in Loop: Header=BB55_46 Depth=2
	s_and_not1_saveexec_b32 s39, s39
	s_cbranch_execz .LBB55_50
; %bb.49:                               ;   in Loop: Header=BB55_46 Depth=2
	v_sub_nc_u32_e32 v15, v13, v3
	s_or_b32 s4, s4, exec_lo
	ds_store_b8 v15, v36
.LBB55_50:                              ;   in Loop: Header=BB55_46 Depth=2
	s_or_b32 exec_lo, exec_lo, s39
	s_delay_alu instid0(SALU_CYCLE_1)
	s_and_not1_b32 s37, s37, exec_lo
	s_and_b32 s39, s38, exec_lo
	s_mov_b32 s38, -1
	s_or_b32 s37, s37, s39
	s_and_saveexec_b32 s39, s4
	s_cbranch_execz .LBB55_45
; %bb.51:                               ;   in Loop: Header=BB55_46 Depth=2
	v_add_co_u32 v9, vcc_lo, 0x200, v9
	v_add_co_ci_u32_e32 v10, vcc_lo, 0, v10, vcc_lo
	v_add_co_u32 v11, s4, 0x1000, v11
	s_delay_alu instid0(VALU_DEP_1) | instskip(NEXT) | instid1(VALU_DEP_3)
	v_add_co_ci_u32_e64 v12, s4, 0, v12, s4
	v_cmp_le_i64_e32 vcc_lo, s[28:29], v[9:10]
	s_and_not1_b32 s37, s37, exec_lo
	s_or_not1_b32 s38, vcc_lo, exec_lo
	s_branch .LBB55_45
.LBB55_52:                              ;   in Loop: Header=BB55_9 Depth=1
	s_or_b32 exec_lo, exec_lo, s35
	s_and_saveexec_b32 s4, s36
	s_delay_alu instid0(SALU_CYCLE_1)
	s_xor_b32 s4, exec_lo, s4
; %bb.53:                               ;   in Loop: Header=BB55_9 Depth=1
	v_cmp_lt_i64_e32 vcc_lo, v[13:14], v[7:8]
	v_dual_cndmask_b32 v8, v8, v14 :: v_dual_cndmask_b32 v7, v7, v13
; %bb.54:                               ;   in Loop: Header=BB55_9 Depth=1
	s_or_b32 exec_lo, exec_lo, s4
.LBB55_55:                              ;   in Loop: Header=BB55_9 Depth=1
	s_delay_alu instid0(SALU_CYCLE_1)
	s_or_b32 exec_lo, exec_lo, s5
.LBB55_56:                              ;   in Loop: Header=BB55_9 Depth=1
	ds_bpermute_b32 v3, v31, v7
	ds_bpermute_b32 v4, v31, v8
	s_waitcnt lgkmcnt(0)
	v_cmp_lt_i64_e32 vcc_lo, v[3:4], v[7:8]
	v_dual_cndmask_b32 v4, v8, v4 :: v_dual_cndmask_b32 v3, v7, v3
	ds_bpermute_b32 v6, v32, v4
	ds_bpermute_b32 v5, v32, v3
	s_waitcnt lgkmcnt(0)
	v_cmp_lt_i64_e32 vcc_lo, v[5:6], v[3:4]
	v_dual_cndmask_b32 v4, v4, v6 :: v_dual_cndmask_b32 v3, v3, v5
	;; [unrolled: 5-line block ×3, first 2 shown]
	ds_bpermute_b32 v6, v34, v4
	ds_bpermute_b32 v5, v34, v3
	s_and_saveexec_b32 s28, s3
	s_cbranch_execz .LBB55_61
; %bb.57:                               ;   in Loop: Header=BB55_9 Depth=1
	s_waitcnt lgkmcnt(0)
	v_cmp_lt_i64_e32 vcc_lo, v[5:6], v[3:4]
	s_mov_b32 s29, exec_lo
	s_mov_b64 s[4:5], -1
	v_dual_cndmask_b32 v4, v4, v6 :: v_dual_cndmask_b32 v3, v3, v5
.LBB55_58:                              ;   Parent Loop BB55_9 Depth=1
                                        ; =>  This Inner Loop Header: Depth=2
	s_ctz_i32_b32 s35, s29
	s_delay_alu instid0(VALU_DEP_1) | instid1(SALU_CYCLE_1)
	v_readlane_b32 s37, v4, s35
	s_delay_alu instid0(VALU_DEP_2) | instskip(NEXT) | instid1(VALU_DEP_1)
	v_readlane_b32 s36, v3, s35
	v_cmp_lt_u64_e64 s38, s[4:5], s[36:37]
	s_delay_alu instid0(VALU_DEP_1) | instskip(SKIP_3) | instid1(SALU_CYCLE_1)
	s_and_b32 s38, s38, exec_lo
	s_cselect_b32 s5, s5, s37
	s_cselect_b32 s4, s4, s36
	s_lshl_b32 s35, 1, s35
	s_and_not1_b32 s29, s29, s35
	s_delay_alu instid0(SALU_CYCLE_1)
	s_cmp_lg_u32 s29, 0
	s_cbranch_scc1 .LBB55_58
; %bb.59:                               ;   in Loop: Header=BB55_9 Depth=1
	v_mbcnt_lo_u32_b32 v3, exec_lo, 0
	s_mov_b32 s29, exec_lo
	s_delay_alu instid0(VALU_DEP_1)
	v_cmpx_eq_u32_e32 0, v3
	s_xor_b32 s29, exec_lo, s29
	s_cbranch_execz .LBB55_61
; %bb.60:                               ;   in Loop: Header=BB55_9 Depth=1
	v_dual_mov_b32 v3, s4 :: v_dual_mov_b32 v4, s5
	ds_min_u64 v28, v[3:4] offset:2048
.LBB55_61:                              ;   in Loop: Header=BB55_9 Depth=1
	s_or_b32 exec_lo, exec_lo, s28
	v_mov_b32_e32 v3, 0
	s_waitcnt lgkmcnt(0)
	v_dual_mov_b32 v4, 0 :: v_dual_mov_b32 v5, v35
	s_mov_b32 s5, 0
	s_waitcnt_vscnt null, 0x0
	s_barrier
	buffer_gl0_inv
.LBB55_62:                              ;   Parent Loop BB55_9 Depth=1
                                        ; =>  This Inner Loop Header: Depth=2
	ds_load_u8 v6, v5 offset:512
	v_add_nc_u32_e32 v5, 0x200, v5
	s_delay_alu instid0(VALU_DEP_1) | instskip(SKIP_3) | instid1(VALU_DEP_1)
	v_cmp_lt_u32_e32 vcc_lo, 0x5ff, v5
	s_or_b32 s5, vcc_lo, s5
	s_waitcnt lgkmcnt(0)
	v_and_b32_e32 v6, 0xffff, v6
	v_add_co_u32 v3, s4, v3, v6
	s_delay_alu instid0(VALU_DEP_1)
	v_add_co_ci_u32_e64 v4, s4, 0, v4, s4
	s_and_not1_b32 exec_lo, exec_lo, s5
	s_cbranch_execnz .LBB55_62
; %bb.63:                               ;   in Loop: Header=BB55_9 Depth=1
	s_or_b32 exec_lo, exec_lo, s5
	ds_bpermute_b32 v5, v31, v3
	ds_bpermute_b32 v6, v31, v4
	s_waitcnt lgkmcnt(1)
	v_add_co_u32 v3, vcc_lo, v3, v5
	v_add_co_ci_u32_e32 v4, vcc_lo, 0, v4, vcc_lo
	ds_bpermute_b32 v5, v32, v3
	v_add_co_u32 v3, vcc_lo, 0, v3
	s_waitcnt lgkmcnt(1)
	v_add_co_ci_u32_e32 v4, vcc_lo, v6, v4, vcc_lo
	ds_bpermute_b32 v6, v32, v4
	s_waitcnt lgkmcnt(1)
	v_add_co_u32 v3, vcc_lo, v3, v5
	v_add_co_ci_u32_e32 v4, vcc_lo, 0, v4, vcc_lo
	ds_bpermute_b32 v5, v33, v3
	v_add_co_u32 v3, vcc_lo, v3, 0
	s_waitcnt lgkmcnt(1)
	v_add_co_ci_u32_e32 v4, vcc_lo, v4, v6, vcc_lo
	ds_bpermute_b32 v6, v33, v4
	s_waitcnt lgkmcnt(1)
	v_add_co_u32 v7, vcc_lo, v3, v5
	v_add_co_ci_u32_e32 v4, vcc_lo, 0, v4, vcc_lo
	s_delay_alu instid0(VALU_DEP_2) | instskip(SKIP_1) | instid1(VALU_DEP_2)
	v_add_co_u32 v3, vcc_lo, v7, 0
	s_waitcnt lgkmcnt(0)
	v_add_co_ci_u32_e32 v5, vcc_lo, v4, v6, vcc_lo
	ds_bpermute_b32 v6, v34, v7
	ds_bpermute_b32 v4, v34, v5
	s_and_saveexec_b32 s28, s3
	s_cbranch_execz .LBB55_8
; %bb.64:                               ;   in Loop: Header=BB55_9 Depth=1
	s_waitcnt lgkmcnt(1)
	v_add_co_u32 v3, vcc_lo, v3, v6
	v_add_co_ci_u32_e32 v5, vcc_lo, 0, v5, vcc_lo
	s_mov_b32 s29, exec_lo
	s_delay_alu instid0(VALU_DEP_2) | instskip(SKIP_1) | instid1(VALU_DEP_2)
	v_add_co_u32 v3, vcc_lo, v3, 0
	s_waitcnt lgkmcnt(0)
	v_add_co_ci_u32_e32 v4, vcc_lo, v5, v4, vcc_lo
	s_mov_b64 s[4:5], 0
.LBB55_65:                              ;   Parent Loop BB55_9 Depth=1
                                        ; =>  This Inner Loop Header: Depth=2
	s_ctz_i32_b32 s35, s29
	s_delay_alu instid0(SALU_CYCLE_1) | instskip(NEXT) | instid1(VALU_DEP_2)
	v_readlane_b32 s36, v3, s35
	v_readlane_b32 s37, v4, s35
	s_delay_alu instid0(VALU_DEP_2) | instskip(NEXT) | instid1(VALU_DEP_1)
	s_add_u32 s4, s4, s36
	s_addc_u32 s5, s5, s37
	s_lshl_b32 s35, 1, s35
	s_delay_alu instid0(SALU_CYCLE_1) | instskip(NEXT) | instid1(SALU_CYCLE_1)
	s_and_not1_b32 s29, s29, s35
	s_cmp_lg_u32 s29, 0
	s_cbranch_scc1 .LBB55_65
; %bb.66:                               ;   in Loop: Header=BB55_9 Depth=1
	v_mbcnt_lo_u32_b32 v3, exec_lo, 0
	s_mov_b32 s29, exec_lo
	s_delay_alu instid0(VALU_DEP_1)
	v_cmpx_eq_u32_e32 0, v3
	s_xor_b32 s29, exec_lo, s29
	s_cbranch_execz .LBB55_8
; %bb.67:                               ;   in Loop: Header=BB55_9 Depth=1
	v_dual_mov_b32 v3, s4 :: v_dual_mov_b32 v4, s5
	ds_add_u64 v28, v[3:4] offset:2056
	s_branch .LBB55_8
.LBB55_68:
	s_and_saveexec_b32 s3, s2
	s_cbranch_execz .LBB55_70
; %bb.69:
	v_mov_b32_e32 v2, 0
	s_load_b64 s[0:1], s[0:1], 0x48
	s_lshl_b64 s[2:3], s[6:7], 3
	ds_load_b64 v[0:1], v2 offset:2056
	s_waitcnt lgkmcnt(0)
	s_add_u32 s0, s0, s2
	s_addc_u32 s1, s1, s3
	global_store_b64 v2, v[0:1], s[0:1]
.LBB55_70:
	s_nop 0
	s_sendmsg sendmsg(MSG_DEALLOC_VGPRS)
	s_endpgm
	.section	.rodata,"a",@progbits
	.p2align	6, 0x0
	.amdhsa_kernel _ZN9rocsparseL35csrgemm_nnz_block_per_row_multipassILj512ELj16ELj2048EllEEvT3_PKS1_S3_PKT2_S3_S6_S3_S6_S3_PS4_S7_21rocsparse_index_base_S8_S8_bb
		.amdhsa_group_segment_fixed_size 2064
		.amdhsa_private_segment_fixed_size 0
		.amdhsa_kernarg_size 104
		.amdhsa_user_sgpr_count 15
		.amdhsa_user_sgpr_dispatch_ptr 0
		.amdhsa_user_sgpr_queue_ptr 0
		.amdhsa_user_sgpr_kernarg_segment_ptr 1
		.amdhsa_user_sgpr_dispatch_id 0
		.amdhsa_user_sgpr_private_segment_size 0
		.amdhsa_wavefront_size32 1
		.amdhsa_uses_dynamic_stack 0
		.amdhsa_enable_private_segment 0
		.amdhsa_system_sgpr_workgroup_id_x 1
		.amdhsa_system_sgpr_workgroup_id_y 0
		.amdhsa_system_sgpr_workgroup_id_z 0
		.amdhsa_system_sgpr_workgroup_info 0
		.amdhsa_system_vgpr_workitem_id 0
		.amdhsa_next_free_vgpr 37
		.amdhsa_next_free_sgpr 42
		.amdhsa_reserve_vcc 1
		.amdhsa_float_round_mode_32 0
		.amdhsa_float_round_mode_16_64 0
		.amdhsa_float_denorm_mode_32 3
		.amdhsa_float_denorm_mode_16_64 3
		.amdhsa_dx10_clamp 1
		.amdhsa_ieee_mode 1
		.amdhsa_fp16_overflow 0
		.amdhsa_workgroup_processor_mode 1
		.amdhsa_memory_ordered 1
		.amdhsa_forward_progress 0
		.amdhsa_shared_vgpr_count 0
		.amdhsa_exception_fp_ieee_invalid_op 0
		.amdhsa_exception_fp_denorm_src 0
		.amdhsa_exception_fp_ieee_div_zero 0
		.amdhsa_exception_fp_ieee_overflow 0
		.amdhsa_exception_fp_ieee_underflow 0
		.amdhsa_exception_fp_ieee_inexact 0
		.amdhsa_exception_int_div_zero 0
	.end_amdhsa_kernel
	.section	.text._ZN9rocsparseL35csrgemm_nnz_block_per_row_multipassILj512ELj16ELj2048EllEEvT3_PKS1_S3_PKT2_S3_S6_S3_S6_S3_PS4_S7_21rocsparse_index_base_S8_S8_bb,"axG",@progbits,_ZN9rocsparseL35csrgemm_nnz_block_per_row_multipassILj512ELj16ELj2048EllEEvT3_PKS1_S3_PKT2_S3_S6_S3_S6_S3_PS4_S7_21rocsparse_index_base_S8_S8_bb,comdat
.Lfunc_end55:
	.size	_ZN9rocsparseL35csrgemm_nnz_block_per_row_multipassILj512ELj16ELj2048EllEEvT3_PKS1_S3_PKT2_S3_S6_S3_S6_S3_PS4_S7_21rocsparse_index_base_S8_S8_bb, .Lfunc_end55-_ZN9rocsparseL35csrgemm_nnz_block_per_row_multipassILj512ELj16ELj2048EllEEvT3_PKS1_S3_PKT2_S3_S6_S3_S6_S3_PS4_S7_21rocsparse_index_base_S8_S8_bb
                                        ; -- End function
	.section	.AMDGPU.csdata,"",@progbits
; Kernel info:
; codeLenInByte = 2792
; NumSgprs: 44
; NumVgprs: 37
; ScratchSize: 0
; MemoryBound: 0
; FloatMode: 240
; IeeeMode: 1
; LDSByteSize: 2064 bytes/workgroup (compile time only)
; SGPRBlocks: 5
; VGPRBlocks: 4
; NumSGPRsForWavesPerEU: 44
; NumVGPRsForWavesPerEU: 37
; Occupancy: 16
; WaveLimiterHint : 1
; COMPUTE_PGM_RSRC2:SCRATCH_EN: 0
; COMPUTE_PGM_RSRC2:USER_SGPR: 15
; COMPUTE_PGM_RSRC2:TRAP_HANDLER: 0
; COMPUTE_PGM_RSRC2:TGID_X_EN: 1
; COMPUTE_PGM_RSRC2:TGID_Y_EN: 0
; COMPUTE_PGM_RSRC2:TGID_Z_EN: 0
; COMPUTE_PGM_RSRC2:TIDIG_COMP_CNT: 0
	.text
	.p2alignl 7, 3214868480
	.fill 96, 4, 3214868480
	.type	__hip_cuid_56f0bb38f6182269,@object ; @__hip_cuid_56f0bb38f6182269
	.section	.bss,"aw",@nobits
	.globl	__hip_cuid_56f0bb38f6182269
__hip_cuid_56f0bb38f6182269:
	.byte	0                               ; 0x0
	.size	__hip_cuid_56f0bb38f6182269, 1

	.ident	"AMD clang version 19.0.0git (https://github.com/RadeonOpenCompute/llvm-project roc-6.4.0 25133 c7fe45cf4b819c5991fe208aaa96edf142730f1d)"
	.section	".note.GNU-stack","",@progbits
	.addrsig
	.addrsig_sym _ZN9rocsparse13shared_memoryE
	.addrsig_sym __hip_cuid_56f0bb38f6182269
	.amdgpu_metadata
---
amdhsa.kernels:
  - .args:
      - .offset:         0
        .size:           4
        .value_kind:     by_value
      - .actual_access:  read_only
        .address_space:  global
        .offset:         8
        .size:           8
        .value_kind:     global_buffer
      - .actual_access:  read_only
        .address_space:  global
        .offset:         16
        .size:           8
        .value_kind:     global_buffer
      - .actual_access:  read_only
        .address_space:  global
        .offset:         24
        .size:           8
        .value_kind:     global_buffer
      - .actual_access:  read_only
        .address_space:  global
        .offset:         32
        .size:           8
        .value_kind:     global_buffer
      - .actual_access:  write_only
        .address_space:  global
        .offset:         40
        .size:           8
        .value_kind:     global_buffer
      - .offset:         48
        .size:           4
        .value_kind:     by_value
      - .offset:         52
        .size:           1
        .value_kind:     by_value
      - .offset:         53
        .size:           1
        .value_kind:     by_value
    .group_segment_fixed_size: 0
    .kernarg_segment_align: 8
    .kernarg_segment_size: 56
    .language:       OpenCL C
    .language_version:
      - 2
      - 0
    .max_flat_workgroup_size: 256
    .name:           _ZN9rocsparseL29csrgemm_intermediate_productsILj256ELj8EiiEEvT2_PKT1_PKS1_S4_S4_PS2_21rocsparse_index_base_bb
    .private_segment_fixed_size: 0
    .sgpr_count:     18
    .sgpr_spill_count: 0
    .symbol:         _ZN9rocsparseL29csrgemm_intermediate_productsILj256ELj8EiiEEvT2_PKT1_PKS1_S4_S4_PS2_21rocsparse_index_base_bb.kd
    .uniform_work_group_size: 1
    .uses_dynamic_stack: false
    .vgpr_count:     8
    .vgpr_spill_count: 0
    .wavefront_size: 32
    .workgroup_processor_mode: 1
  - .args:
      - .offset:         0
        .size:           4
        .value_kind:     by_value
      - .address_space:  global
        .offset:         8
        .size:           8
        .value_kind:     global_buffer
      - .actual_access:  write_only
        .address_space:  global
        .offset:         16
        .size:           8
        .value_kind:     global_buffer
      - .offset:         24
        .size:           4
        .value_kind:     by_value
      - .offset:         32
        .size:           4
        .value_kind:     hidden_block_count_x
      - .offset:         36
        .size:           4
        .value_kind:     hidden_block_count_y
      - .offset:         40
        .size:           4
        .value_kind:     hidden_block_count_z
      - .offset:         44
        .size:           2
        .value_kind:     hidden_group_size_x
      - .offset:         46
        .size:           2
        .value_kind:     hidden_group_size_y
      - .offset:         48
        .size:           2
        .value_kind:     hidden_group_size_z
      - .offset:         50
        .size:           2
        .value_kind:     hidden_remainder_x
      - .offset:         52
        .size:           2
        .value_kind:     hidden_remainder_y
      - .offset:         54
        .size:           2
        .value_kind:     hidden_remainder_z
      - .offset:         72
        .size:           8
        .value_kind:     hidden_global_offset_x
      - .offset:         80
        .size:           8
        .value_kind:     hidden_global_offset_y
      - .offset:         88
        .size:           8
        .value_kind:     hidden_global_offset_z
      - .offset:         96
        .size:           2
        .value_kind:     hidden_grid_dims
    .group_segment_fixed_size: 11264
    .kernarg_segment_align: 8
    .kernarg_segment_size: 288
    .language:       OpenCL C
    .language_version:
      - 2
      - 0
    .max_flat_workgroup_size: 256
    .name:           _ZN9rocsparseL26csrgemm_group_reduce_part1ILj256ELj11EiiEEvT2_PT1_PS1_j
    .private_segment_fixed_size: 0
    .sgpr_count:     24
    .sgpr_spill_count: 0
    .symbol:         _ZN9rocsparseL26csrgemm_group_reduce_part1ILj256ELj11EiiEEvT2_PT1_PS1_j.kd
    .uniform_work_group_size: 1
    .uses_dynamic_stack: false
    .vgpr_count:     25
    .vgpr_spill_count: 0
    .wavefront_size: 32
    .workgroup_processor_mode: 1
  - .args:
      - .address_space:  global
        .offset:         0
        .size:           8
        .value_kind:     global_buffer
    .group_segment_fixed_size: 11264
    .kernarg_segment_align: 8
    .kernarg_segment_size: 8
    .language:       OpenCL C
    .language_version:
      - 2
      - 0
    .max_flat_workgroup_size: 256
    .name:           _ZN9rocsparseL26csrgemm_group_reduce_part3ILj256ELj11EiEEvPT1_
    .private_segment_fixed_size: 0
    .sgpr_count:     6
    .sgpr_spill_count: 0
    .symbol:         _ZN9rocsparseL26csrgemm_group_reduce_part3ILj256ELj11EiEEvPT1_.kd
    .uniform_work_group_size: 1
    .uses_dynamic_stack: false
    .vgpr_count:     24
    .vgpr_spill_count: 0
    .wavefront_size: 32
    .workgroup_processor_mode: 1
  - .args:
      - .offset:         0
        .size:           4
        .value_kind:     by_value
      - .actual_access:  read_only
        .address_space:  global
        .offset:         8
        .size:           8
        .value_kind:     global_buffer
      - .actual_access:  read_only
        .address_space:  global
        .offset:         16
        .size:           8
        .value_kind:     global_buffer
      - .actual_access:  read_only
        .address_space:  global
        .offset:         24
        .size:           8
        .value_kind:     global_buffer
      - .actual_access:  read_only
        .address_space:  global
        .offset:         32
        .size:           8
        .value_kind:     global_buffer
      - .actual_access:  read_only
        .address_space:  global
        .offset:         40
        .size:           8
        .value_kind:     global_buffer
      - .actual_access:  read_only
        .address_space:  global
        .offset:         48
        .size:           8
        .value_kind:     global_buffer
      - .actual_access:  read_only
        .address_space:  global
        .offset:         56
        .size:           8
        .value_kind:     global_buffer
      - .actual_access:  read_only
        .address_space:  global
        .offset:         64
        .size:           8
        .value_kind:     global_buffer
      - .actual_access:  write_only
        .address_space:  global
        .offset:         72
        .size:           8
        .value_kind:     global_buffer
      - .offset:         80
        .size:           4
        .value_kind:     by_value
      - .offset:         84
        .size:           4
        .value_kind:     by_value
      - .offset:         88
        .size:           4
        .value_kind:     by_value
      - .offset:         92
        .size:           1
        .value_kind:     by_value
      - .offset:         93
        .size:           1
        .value_kind:     by_value
    .group_segment_fixed_size: 4096
    .kernarg_segment_align: 8
    .kernarg_segment_size: 96
    .language:       OpenCL C
    .language_version:
      - 2
      - 0
    .max_flat_workgroup_size: 128
    .name:           _ZN9rocsparseL22csrgemm_nnz_wf_per_rowILj128ELj4ELj32ELj79EiiEEvT4_PKS1_S3_PKT3_S3_S6_S3_S6_S3_PS4_21rocsparse_index_base_S8_S8_bb
    .private_segment_fixed_size: 0
    .sgpr_count:     33
    .sgpr_spill_count: 0
    .symbol:         _ZN9rocsparseL22csrgemm_nnz_wf_per_rowILj128ELj4ELj32ELj79EiiEEvT4_PKS1_S3_PKT3_S3_S6_S3_S6_S3_PS4_21rocsparse_index_base_S8_S8_bb.kd
    .uniform_work_group_size: 1
    .uses_dynamic_stack: false
    .vgpr_count:     14
    .vgpr_spill_count: 0
    .wavefront_size: 32
    .workgroup_processor_mode: 1
  - .args:
      - .offset:         0
        .size:           4
        .value_kind:     by_value
      - .actual_access:  read_only
        .address_space:  global
        .offset:         8
        .size:           8
        .value_kind:     global_buffer
      - .actual_access:  read_only
        .address_space:  global
        .offset:         16
        .size:           8
        .value_kind:     global_buffer
      - .actual_access:  read_only
        .address_space:  global
        .offset:         24
        .size:           8
        .value_kind:     global_buffer
      - .actual_access:  read_only
        .address_space:  global
        .offset:         32
        .size:           8
        .value_kind:     global_buffer
      - .actual_access:  read_only
        .address_space:  global
        .offset:         40
        .size:           8
        .value_kind:     global_buffer
      - .actual_access:  read_only
        .address_space:  global
        .offset:         48
        .size:           8
        .value_kind:     global_buffer
      - .actual_access:  read_only
        .address_space:  global
        .offset:         56
        .size:           8
        .value_kind:     global_buffer
      - .actual_access:  read_only
        .address_space:  global
        .offset:         64
        .size:           8
        .value_kind:     global_buffer
      - .actual_access:  write_only
        .address_space:  global
        .offset:         72
        .size:           8
        .value_kind:     global_buffer
      - .offset:         80
        .size:           4
        .value_kind:     by_value
      - .offset:         84
        .size:           4
        .value_kind:     by_value
      - .offset:         88
        .size:           4
        .value_kind:     by_value
      - .offset:         92
        .size:           1
        .value_kind:     by_value
      - .offset:         93
        .size:           1
        .value_kind:     by_value
    .group_segment_fixed_size: 8192
    .kernarg_segment_align: 8
    .kernarg_segment_size: 96
    .language:       OpenCL C
    .language_version:
      - 2
      - 0
    .max_flat_workgroup_size: 256
    .name:           _ZN9rocsparseL22csrgemm_nnz_wf_per_rowILj256ELj8ELj64ELj79EiiEEvT4_PKS1_S3_PKT3_S3_S6_S3_S6_S3_PS4_21rocsparse_index_base_S8_S8_bb
    .private_segment_fixed_size: 0
    .sgpr_count:     33
    .sgpr_spill_count: 0
    .symbol:         _ZN9rocsparseL22csrgemm_nnz_wf_per_rowILj256ELj8ELj64ELj79EiiEEvT4_PKS1_S3_PKT3_S3_S6_S3_S6_S3_PS4_21rocsparse_index_base_S8_S8_bb.kd
    .uniform_work_group_size: 1
    .uses_dynamic_stack: false
    .vgpr_count:     14
    .vgpr_spill_count: 0
    .wavefront_size: 32
    .workgroup_processor_mode: 1
  - .args:
      - .actual_access:  read_only
        .address_space:  global
        .offset:         0
        .size:           8
        .value_kind:     global_buffer
      - .actual_access:  read_only
        .address_space:  global
        .offset:         8
        .size:           8
        .value_kind:     global_buffer
      - .actual_access:  read_only
        .address_space:  global
        .offset:         16
        .size:           8
        .value_kind:     global_buffer
      - .actual_access:  read_only
        .address_space:  global
        .offset:         24
        .size:           8
        .value_kind:     global_buffer
      - .actual_access:  read_only
        .address_space:  global
        .offset:         32
        .size:           8
        .value_kind:     global_buffer
      - .actual_access:  read_only
        .address_space:  global
        .offset:         40
        .size:           8
        .value_kind:     global_buffer
      - .actual_access:  read_only
        .address_space:  global
        .offset:         48
        .size:           8
        .value_kind:     global_buffer
      - .actual_access:  read_only
        .address_space:  global
        .offset:         56
        .size:           8
        .value_kind:     global_buffer
      - .actual_access:  write_only
        .address_space:  global
        .offset:         64
        .size:           8
        .value_kind:     global_buffer
      - .offset:         72
        .size:           4
        .value_kind:     by_value
      - .offset:         76
        .size:           4
        .value_kind:     by_value
      - .offset:         80
        .size:           4
        .value_kind:     by_value
      - .offset:         84
        .size:           1
        .value_kind:     by_value
      - .offset:         85
        .size:           1
        .value_kind:     by_value
    .group_segment_fixed_size: 0
    .kernarg_segment_align: 8
    .kernarg_segment_size: 88
    .language:       OpenCL C
    .language_version:
      - 2
      - 0
    .max_flat_workgroup_size: 128
    .name:           _ZN9rocsparseL25csrgemm_nnz_block_per_rowILj128ELj8ELj512ELj79EiiEEvPKT4_S3_PKT3_S3_S6_S3_S6_S3_PS4_21rocsparse_index_base_S8_S8_bb
    .private_segment_fixed_size: 0
    .sgpr_count:     36
    .sgpr_spill_count: 0
    .symbol:         _ZN9rocsparseL25csrgemm_nnz_block_per_rowILj128ELj8ELj512ELj79EiiEEvPKT4_S3_PKT3_S3_S6_S3_S6_S3_PS4_21rocsparse_index_base_S8_S8_bb.kd
    .uniform_work_group_size: 1
    .uses_dynamic_stack: false
    .vgpr_count:     14
    .vgpr_spill_count: 0
    .wavefront_size: 32
    .workgroup_processor_mode: 1
  - .args:
      - .actual_access:  read_only
        .address_space:  global
        .offset:         0
        .size:           8
        .value_kind:     global_buffer
      - .actual_access:  read_only
        .address_space:  global
        .offset:         8
        .size:           8
        .value_kind:     global_buffer
      - .actual_access:  read_only
        .address_space:  global
        .offset:         16
        .size:           8
        .value_kind:     global_buffer
      - .actual_access:  read_only
        .address_space:  global
        .offset:         24
        .size:           8
        .value_kind:     global_buffer
      - .actual_access:  read_only
        .address_space:  global
        .offset:         32
        .size:           8
        .value_kind:     global_buffer
      - .actual_access:  read_only
        .address_space:  global
        .offset:         40
        .size:           8
        .value_kind:     global_buffer
      - .actual_access:  read_only
        .address_space:  global
        .offset:         48
        .size:           8
        .value_kind:     global_buffer
      - .actual_access:  read_only
        .address_space:  global
        .offset:         56
        .size:           8
        .value_kind:     global_buffer
      - .actual_access:  write_only
        .address_space:  global
        .offset:         64
        .size:           8
        .value_kind:     global_buffer
      - .offset:         72
        .size:           4
        .value_kind:     by_value
      - .offset:         76
        .size:           4
        .value_kind:     by_value
      - .offset:         80
        .size:           4
        .value_kind:     by_value
      - .offset:         84
        .size:           1
        .value_kind:     by_value
      - .offset:         85
        .size:           1
        .value_kind:     by_value
    .group_segment_fixed_size: 0
    .kernarg_segment_align: 8
    .kernarg_segment_size: 88
    .language:       OpenCL C
    .language_version:
      - 2
      - 0
    .max_flat_workgroup_size: 128
    .name:           _ZN9rocsparseL25csrgemm_nnz_block_per_rowILj128ELj8ELj1024ELj79EiiEEvPKT4_S3_PKT3_S3_S6_S3_S6_S3_PS4_21rocsparse_index_base_S8_S8_bb
    .private_segment_fixed_size: 0
    .sgpr_count:     29
    .sgpr_spill_count: 0
    .symbol:         _ZN9rocsparseL25csrgemm_nnz_block_per_rowILj128ELj8ELj1024ELj79EiiEEvPKT4_S3_PKT3_S3_S6_S3_S6_S3_PS4_21rocsparse_index_base_S8_S8_bb.kd
    .uniform_work_group_size: 1
    .uses_dynamic_stack: false
    .vgpr_count:     14
    .vgpr_spill_count: 0
    .wavefront_size: 32
    .workgroup_processor_mode: 1
  - .args:
      - .actual_access:  read_only
        .address_space:  global
        .offset:         0
        .size:           8
        .value_kind:     global_buffer
      - .actual_access:  read_only
        .address_space:  global
        .offset:         8
        .size:           8
        .value_kind:     global_buffer
      - .actual_access:  read_only
        .address_space:  global
        .offset:         16
        .size:           8
        .value_kind:     global_buffer
      - .actual_access:  read_only
        .address_space:  global
        .offset:         24
        .size:           8
        .value_kind:     global_buffer
      - .actual_access:  read_only
        .address_space:  global
        .offset:         32
        .size:           8
        .value_kind:     global_buffer
      - .actual_access:  read_only
        .address_space:  global
        .offset:         40
        .size:           8
        .value_kind:     global_buffer
      - .actual_access:  read_only
        .address_space:  global
        .offset:         48
        .size:           8
        .value_kind:     global_buffer
      - .actual_access:  read_only
        .address_space:  global
        .offset:         56
        .size:           8
        .value_kind:     global_buffer
      - .actual_access:  write_only
        .address_space:  global
        .offset:         64
        .size:           8
        .value_kind:     global_buffer
      - .offset:         72
        .size:           4
        .value_kind:     by_value
      - .offset:         76
        .size:           4
        .value_kind:     by_value
      - .offset:         80
        .size:           4
        .value_kind:     by_value
      - .offset:         84
        .size:           1
        .value_kind:     by_value
      - .offset:         85
        .size:           1
        .value_kind:     by_value
    .group_segment_fixed_size: 0
    .kernarg_segment_align: 8
    .kernarg_segment_size: 88
    .language:       OpenCL C
    .language_version:
      - 2
      - 0
    .max_flat_workgroup_size: 256
    .name:           _ZN9rocsparseL25csrgemm_nnz_block_per_rowILj256ELj16ELj2048ELj79EiiEEvPKT4_S3_PKT3_S3_S6_S3_S6_S3_PS4_21rocsparse_index_base_S8_S8_bb
    .private_segment_fixed_size: 0
    .sgpr_count:     29
    .sgpr_spill_count: 0
    .symbol:         _ZN9rocsparseL25csrgemm_nnz_block_per_rowILj256ELj16ELj2048ELj79EiiEEvPKT4_S3_PKT3_S3_S6_S3_S6_S3_PS4_21rocsparse_index_base_S8_S8_bb.kd
    .uniform_work_group_size: 1
    .uses_dynamic_stack: false
    .vgpr_count:     14
    .vgpr_spill_count: 0
    .wavefront_size: 32
    .workgroup_processor_mode: 1
  - .args:
      - .actual_access:  read_only
        .address_space:  global
        .offset:         0
        .size:           8
        .value_kind:     global_buffer
      - .actual_access:  read_only
        .address_space:  global
        .offset:         8
        .size:           8
        .value_kind:     global_buffer
      - .actual_access:  read_only
        .address_space:  global
        .offset:         16
        .size:           8
        .value_kind:     global_buffer
      - .actual_access:  read_only
        .address_space:  global
        .offset:         24
        .size:           8
        .value_kind:     global_buffer
      - .actual_access:  read_only
        .address_space:  global
        .offset:         32
        .size:           8
        .value_kind:     global_buffer
      - .actual_access:  read_only
        .address_space:  global
        .offset:         40
        .size:           8
        .value_kind:     global_buffer
      - .actual_access:  read_only
        .address_space:  global
        .offset:         48
        .size:           8
        .value_kind:     global_buffer
      - .actual_access:  read_only
        .address_space:  global
        .offset:         56
        .size:           8
        .value_kind:     global_buffer
      - .actual_access:  write_only
        .address_space:  global
        .offset:         64
        .size:           8
        .value_kind:     global_buffer
      - .offset:         72
        .size:           4
        .value_kind:     by_value
      - .offset:         76
        .size:           4
        .value_kind:     by_value
      - .offset:         80
        .size:           4
        .value_kind:     by_value
      - .offset:         84
        .size:           1
        .value_kind:     by_value
      - .offset:         85
        .size:           1
        .value_kind:     by_value
    .group_segment_fixed_size: 0
    .kernarg_segment_align: 8
    .kernarg_segment_size: 88
    .language:       OpenCL C
    .language_version:
      - 2
      - 0
    .max_flat_workgroup_size: 512
    .name:           _ZN9rocsparseL25csrgemm_nnz_block_per_rowILj512ELj16ELj4096ELj79EiiEEvPKT4_S3_PKT3_S3_S6_S3_S6_S3_PS4_21rocsparse_index_base_S8_S8_bb
    .private_segment_fixed_size: 0
    .sgpr_count:     29
    .sgpr_spill_count: 0
    .symbol:         _ZN9rocsparseL25csrgemm_nnz_block_per_rowILj512ELj16ELj4096ELj79EiiEEvPKT4_S3_PKT3_S3_S6_S3_S6_S3_PS4_21rocsparse_index_base_S8_S8_bb.kd
    .uniform_work_group_size: 1
    .uses_dynamic_stack: false
    .vgpr_count:     14
    .vgpr_spill_count: 0
    .wavefront_size: 32
    .workgroup_processor_mode: 1
  - .args:
      - .actual_access:  read_only
        .address_space:  global
        .offset:         0
        .size:           8
        .value_kind:     global_buffer
      - .actual_access:  read_only
        .address_space:  global
        .offset:         8
        .size:           8
        .value_kind:     global_buffer
      - .actual_access:  read_only
        .address_space:  global
        .offset:         16
        .size:           8
        .value_kind:     global_buffer
      - .actual_access:  read_only
        .address_space:  global
        .offset:         24
        .size:           8
        .value_kind:     global_buffer
      - .actual_access:  read_only
        .address_space:  global
        .offset:         32
        .size:           8
        .value_kind:     global_buffer
      - .actual_access:  read_only
        .address_space:  global
        .offset:         40
        .size:           8
        .value_kind:     global_buffer
      - .actual_access:  read_only
        .address_space:  global
        .offset:         48
        .size:           8
        .value_kind:     global_buffer
      - .actual_access:  read_only
        .address_space:  global
        .offset:         56
        .size:           8
        .value_kind:     global_buffer
      - .actual_access:  write_only
        .address_space:  global
        .offset:         64
        .size:           8
        .value_kind:     global_buffer
      - .offset:         72
        .size:           4
        .value_kind:     by_value
      - .offset:         76
        .size:           4
        .value_kind:     by_value
      - .offset:         80
        .size:           4
        .value_kind:     by_value
      - .offset:         84
        .size:           1
        .value_kind:     by_value
      - .offset:         85
        .size:           1
        .value_kind:     by_value
    .group_segment_fixed_size: 0
    .kernarg_segment_align: 8
    .kernarg_segment_size: 88
    .language:       OpenCL C
    .language_version:
      - 2
      - 0
    .max_flat_workgroup_size: 1024
    .name:           _ZN9rocsparseL25csrgemm_nnz_block_per_rowILj1024ELj32ELj8192ELj79EiiEEvPKT4_S3_PKT3_S3_S6_S3_S6_S3_PS4_21rocsparse_index_base_S8_S8_bb
    .private_segment_fixed_size: 0
    .sgpr_count:     29
    .sgpr_spill_count: 0
    .symbol:         _ZN9rocsparseL25csrgemm_nnz_block_per_rowILj1024ELj32ELj8192ELj79EiiEEvPKT4_S3_PKT3_S3_S6_S3_S6_S3_PS4_21rocsparse_index_base_S8_S8_bb.kd
    .uniform_work_group_size: 1
    .uses_dynamic_stack: false
    .vgpr_count:     14
    .vgpr_spill_count: 0
    .wavefront_size: 32
    .workgroup_processor_mode: 1
  - .args:
      - .actual_access:  read_only
        .address_space:  global
        .offset:         0
        .size:           8
        .value_kind:     global_buffer
      - .actual_access:  read_only
        .address_space:  global
        .offset:         8
        .size:           8
        .value_kind:     global_buffer
      - .actual_access:  read_only
        .address_space:  global
        .offset:         16
        .size:           8
        .value_kind:     global_buffer
      - .actual_access:  read_only
        .address_space:  global
        .offset:         24
        .size:           8
        .value_kind:     global_buffer
      - .actual_access:  read_only
        .address_space:  global
        .offset:         32
        .size:           8
        .value_kind:     global_buffer
      - .actual_access:  read_only
        .address_space:  global
        .offset:         40
        .size:           8
        .value_kind:     global_buffer
      - .actual_access:  read_only
        .address_space:  global
        .offset:         48
        .size:           8
        .value_kind:     global_buffer
      - .actual_access:  read_only
        .address_space:  global
        .offset:         56
        .size:           8
        .value_kind:     global_buffer
      - .actual_access:  write_only
        .address_space:  global
        .offset:         64
        .size:           8
        .value_kind:     global_buffer
      - .offset:         72
        .size:           4
        .value_kind:     by_value
      - .offset:         76
        .size:           4
        .value_kind:     by_value
      - .offset:         80
        .size:           4
        .value_kind:     by_value
      - .offset:         84
        .size:           1
        .value_kind:     by_value
      - .offset:         85
        .size:           1
        .value_kind:     by_value
    .group_segment_fixed_size: 0
    .kernarg_segment_align: 8
    .kernarg_segment_size: 88
    .language:       OpenCL C
    .language_version:
      - 2
      - 0
    .max_flat_workgroup_size: 1024
    .name:           _ZN9rocsparseL25csrgemm_nnz_block_per_rowILj1024ELj32ELj16384ELj79EiiEEvPKT4_S3_PKT3_S3_S6_S3_S6_S3_PS4_21rocsparse_index_base_S8_S8_bb
    .private_segment_fixed_size: 0
    .sgpr_count:     36
    .sgpr_spill_count: 0
    .symbol:         _ZN9rocsparseL25csrgemm_nnz_block_per_rowILj1024ELj32ELj16384ELj79EiiEEvPKT4_S3_PKT3_S3_S6_S3_S6_S3_PS4_21rocsparse_index_base_S8_S8_bb.kd
    .uniform_work_group_size: 1
    .uses_dynamic_stack: false
    .vgpr_count:     13
    .vgpr_spill_count: 0
    .wavefront_size: 32
    .workgroup_processor_mode: 1
  - .args:
      - .actual_access:  read_only
        .address_space:  global
        .offset:         0
        .size:           8
        .value_kind:     global_buffer
      - .actual_access:  read_only
        .address_space:  global
        .offset:         8
        .size:           8
        .value_kind:     global_buffer
      - .actual_access:  read_only
        .address_space:  global
        .offset:         16
        .size:           8
        .value_kind:     global_buffer
      - .actual_access:  read_only
        .address_space:  global
        .offset:         24
        .size:           8
        .value_kind:     global_buffer
      - .actual_access:  read_only
        .address_space:  global
        .offset:         32
        .size:           8
        .value_kind:     global_buffer
      - .actual_access:  read_only
        .address_space:  global
        .offset:         40
        .size:           8
        .value_kind:     global_buffer
      - .actual_access:  read_only
        .address_space:  global
        .offset:         48
        .size:           8
        .value_kind:     global_buffer
      - .actual_access:  read_only
        .address_space:  global
        .offset:         56
        .size:           8
        .value_kind:     global_buffer
      - .actual_access:  write_only
        .address_space:  global
        .offset:         64
        .size:           8
        .value_kind:     global_buffer
      - .offset:         72
        .size:           4
        .value_kind:     by_value
      - .offset:         76
        .size:           4
        .value_kind:     by_value
      - .offset:         80
        .size:           4
        .value_kind:     by_value
      - .offset:         84
        .size:           1
        .value_kind:     by_value
      - .offset:         85
        .size:           1
        .value_kind:     by_value
    .group_segment_fixed_size: 0
    .kernarg_segment_align: 8
    .kernarg_segment_size: 88
    .language:       OpenCL C
    .language_version:
      - 2
      - 0
    .max_flat_workgroup_size: 1024
    .name:           _ZN9rocsparseL25csrgemm_nnz_block_per_rowILj1024ELj32ELj32768ELj79EiiEEvPKT4_S3_PKT3_S3_S6_S3_S6_S3_PS4_21rocsparse_index_base_S8_S8_bb
    .private_segment_fixed_size: 0
    .sgpr_count:     36
    .sgpr_spill_count: 0
    .symbol:         _ZN9rocsparseL25csrgemm_nnz_block_per_rowILj1024ELj32ELj32768ELj79EiiEEvPKT4_S3_PKT3_S3_S6_S3_S6_S3_PS4_21rocsparse_index_base_S8_S8_bb.kd
    .uniform_work_group_size: 1
    .uses_dynamic_stack: false
    .vgpr_count:     13
    .vgpr_spill_count: 0
    .wavefront_size: 32
    .workgroup_processor_mode: 1
  - .args:
      - .actual_access:  read_only
        .address_space:  global
        .offset:         0
        .size:           8
        .value_kind:     global_buffer
      - .actual_access:  read_only
        .address_space:  global
        .offset:         8
        .size:           8
        .value_kind:     global_buffer
      - .actual_access:  read_only
        .address_space:  global
        .offset:         16
        .size:           8
        .value_kind:     global_buffer
      - .actual_access:  read_only
        .address_space:  global
        .offset:         24
        .size:           8
        .value_kind:     global_buffer
      - .actual_access:  read_only
        .address_space:  global
        .offset:         32
        .size:           8
        .value_kind:     global_buffer
      - .actual_access:  read_only
        .address_space:  global
        .offset:         40
        .size:           8
        .value_kind:     global_buffer
      - .actual_access:  read_only
        .address_space:  global
        .offset:         48
        .size:           8
        .value_kind:     global_buffer
      - .actual_access:  read_only
        .address_space:  global
        .offset:         56
        .size:           8
        .value_kind:     global_buffer
      - .actual_access:  write_only
        .address_space:  global
        .offset:         64
        .size:           8
        .value_kind:     global_buffer
      - .offset:         72
        .size:           4
        .value_kind:     by_value
      - .offset:         76
        .size:           4
        .value_kind:     by_value
      - .offset:         80
        .size:           4
        .value_kind:     by_value
      - .offset:         84
        .size:           1
        .value_kind:     by_value
      - .offset:         85
        .size:           1
        .value_kind:     by_value
    .group_segment_fixed_size: 0
    .kernarg_segment_align: 8
    .kernarg_segment_size: 88
    .language:       OpenCL C
    .language_version:
      - 2
      - 0
    .max_flat_workgroup_size: 1024
    .name:           _ZN9rocsparseL25csrgemm_nnz_block_per_rowILj1024ELj32ELj65536ELj79EiiEEvPKT4_S3_PKT3_S3_S6_S3_S6_S3_PS4_21rocsparse_index_base_S8_S8_bb
    .private_segment_fixed_size: 0
    .sgpr_count:     36
    .sgpr_spill_count: 0
    .symbol:         _ZN9rocsparseL25csrgemm_nnz_block_per_rowILj1024ELj32ELj65536ELj79EiiEEvPKT4_S3_PKT3_S3_S6_S3_S6_S3_PS4_21rocsparse_index_base_S8_S8_bb.kd
    .uniform_work_group_size: 1
    .uses_dynamic_stack: false
    .vgpr_count:     13
    .vgpr_spill_count: 0
    .wavefront_size: 32
    .workgroup_processor_mode: 1
  - .args:
      - .offset:         0
        .size:           4
        .value_kind:     by_value
      - .actual_access:  read_only
        .address_space:  global
        .offset:         8
        .size:           8
        .value_kind:     global_buffer
      - .actual_access:  read_only
        .address_space:  global
        .offset:         16
        .size:           8
        .value_kind:     global_buffer
      - .actual_access:  read_only
        .address_space:  global
        .offset:         24
        .size:           8
        .value_kind:     global_buffer
      - .actual_access:  read_only
        .address_space:  global
        .offset:         32
        .size:           8
        .value_kind:     global_buffer
      - .actual_access:  read_only
        .address_space:  global
        .offset:         40
        .size:           8
        .value_kind:     global_buffer
      - .actual_access:  read_only
        .address_space:  global
        .offset:         48
        .size:           8
        .value_kind:     global_buffer
      - .actual_access:  read_only
        .address_space:  global
        .offset:         56
        .size:           8
        .value_kind:     global_buffer
      - .actual_access:  read_only
        .address_space:  global
        .offset:         64
        .size:           8
        .value_kind:     global_buffer
      - .actual_access:  write_only
        .address_space:  global
        .offset:         72
        .size:           8
        .value_kind:     global_buffer
      - .address_space:  global
        .offset:         80
        .size:           8
        .value_kind:     global_buffer
      - .offset:         88
        .size:           4
        .value_kind:     by_value
      - .offset:         92
        .size:           4
        .value_kind:     by_value
      - .offset:         96
        .size:           4
        .value_kind:     by_value
      - .offset:         100
        .size:           1
        .value_kind:     by_value
      - .offset:         101
        .size:           1
        .value_kind:     by_value
    .group_segment_fixed_size: 2056
    .kernarg_segment_align: 8
    .kernarg_segment_size: 104
    .language:       OpenCL C
    .language_version:
      - 2
      - 0
    .max_flat_workgroup_size: 512
    .name:           _ZN9rocsparseL35csrgemm_nnz_block_per_row_multipassILj512ELj16ELj2048EiiEEvT3_PKS1_S3_PKT2_S3_S6_S3_S6_S3_PS4_S7_21rocsparse_index_base_S8_S8_bb
    .private_segment_fixed_size: 0
    .sgpr_count:     41
    .sgpr_spill_count: 0
    .symbol:         _ZN9rocsparseL35csrgemm_nnz_block_per_row_multipassILj512ELj16ELj2048EiiEEvT3_PKS1_S3_PKT2_S3_S6_S3_S6_S3_PS4_S7_21rocsparse_index_base_S8_S8_bb.kd
    .uniform_work_group_size: 1
    .uses_dynamic_stack: false
    .vgpr_count:     24
    .vgpr_spill_count: 0
    .wavefront_size: 32
    .workgroup_processor_mode: 1
  - .args:
      - .address_space:  global
        .offset:         0
        .size:           8
        .value_kind:     global_buffer
    .group_segment_fixed_size: 0
    .kernarg_segment_align: 8
    .kernarg_segment_size: 8
    .language:       OpenCL C
    .language_version:
      - 2
      - 0
    .max_flat_workgroup_size: 1
    .name:           _ZN9rocsparseL18csrgemm_index_baseILj1EiEEvPT0_
    .private_segment_fixed_size: 0
    .sgpr_count:     3
    .sgpr_spill_count: 0
    .symbol:         _ZN9rocsparseL18csrgemm_index_baseILj1EiEEvPT0_.kd
    .uniform_work_group_size: 1
    .uses_dynamic_stack: false
    .vgpr_count:     2
    .vgpr_spill_count: 0
    .wavefront_size: 32
    .workgroup_processor_mode: 1
  - .args:
      - .offset:         0
        .size:           8
        .value_kind:     by_value
      - .actual_access:  read_only
        .address_space:  global
        .offset:         8
        .size:           8
        .value_kind:     global_buffer
      - .actual_access:  read_only
        .address_space:  global
        .offset:         16
        .size:           8
        .value_kind:     global_buffer
      - .actual_access:  read_only
        .address_space:  global
        .offset:         24
        .size:           8
        .value_kind:     global_buffer
      - .actual_access:  read_only
        .address_space:  global
        .offset:         32
        .size:           8
        .value_kind:     global_buffer
      - .actual_access:  write_only
        .address_space:  global
        .offset:         40
        .size:           8
        .value_kind:     global_buffer
      - .offset:         48
        .size:           4
        .value_kind:     by_value
      - .offset:         52
        .size:           1
        .value_kind:     by_value
      - .offset:         53
        .size:           1
        .value_kind:     by_value
    .group_segment_fixed_size: 0
    .kernarg_segment_align: 8
    .kernarg_segment_size: 56
    .language:       OpenCL C
    .language_version:
      - 2
      - 0
    .max_flat_workgroup_size: 256
    .name:           _ZN9rocsparseL29csrgemm_intermediate_productsILj256ELj8EilEEvT2_PKT1_PKS1_S4_S4_PS2_21rocsparse_index_base_bb
    .private_segment_fixed_size: 0
    .sgpr_count:     18
    .sgpr_spill_count: 0
    .symbol:         _ZN9rocsparseL29csrgemm_intermediate_productsILj256ELj8EilEEvT2_PKT1_PKS1_S4_S4_PS2_21rocsparse_index_base_bb.kd
    .uniform_work_group_size: 1
    .uses_dynamic_stack: false
    .vgpr_count:     8
    .vgpr_spill_count: 0
    .wavefront_size: 32
    .workgroup_processor_mode: 1
  - .args:
      - .offset:         0
        .size:           8
        .value_kind:     by_value
      - .address_space:  global
        .offset:         8
        .size:           8
        .value_kind:     global_buffer
      - .actual_access:  write_only
        .address_space:  global
        .offset:         16
        .size:           8
        .value_kind:     global_buffer
      - .offset:         24
        .size:           4
        .value_kind:     by_value
      - .offset:         32
        .size:           4
        .value_kind:     hidden_block_count_x
      - .offset:         36
        .size:           4
        .value_kind:     hidden_block_count_y
      - .offset:         40
        .size:           4
        .value_kind:     hidden_block_count_z
      - .offset:         44
        .size:           2
        .value_kind:     hidden_group_size_x
      - .offset:         46
        .size:           2
        .value_kind:     hidden_group_size_y
      - .offset:         48
        .size:           2
        .value_kind:     hidden_group_size_z
      - .offset:         50
        .size:           2
        .value_kind:     hidden_remainder_x
      - .offset:         52
        .size:           2
        .value_kind:     hidden_remainder_y
      - .offset:         54
        .size:           2
        .value_kind:     hidden_remainder_z
      - .offset:         72
        .size:           8
        .value_kind:     hidden_global_offset_x
      - .offset:         80
        .size:           8
        .value_kind:     hidden_global_offset_y
      - .offset:         88
        .size:           8
        .value_kind:     hidden_global_offset_z
      - .offset:         96
        .size:           2
        .value_kind:     hidden_grid_dims
    .group_segment_fixed_size: 22528
    .kernarg_segment_align: 8
    .kernarg_segment_size: 288
    .language:       OpenCL C
    .language_version:
      - 2
      - 0
    .max_flat_workgroup_size: 256
    .name:           _ZN9rocsparseL26csrgemm_group_reduce_part1ILj256ELj11EilEEvT2_PT1_PS1_j
    .private_segment_fixed_size: 0
    .sgpr_count:     25
    .sgpr_spill_count: 0
    .symbol:         _ZN9rocsparseL26csrgemm_group_reduce_part1ILj256ELj11EilEEvT2_PT1_PS1_j.kd
    .uniform_work_group_size: 1
    .uses_dynamic_stack: false
    .vgpr_count:     43
    .vgpr_spill_count: 0
    .wavefront_size: 32
    .workgroup_processor_mode: 1
  - .args:
      - .address_space:  global
        .offset:         0
        .size:           8
        .value_kind:     global_buffer
    .group_segment_fixed_size: 22528
    .kernarg_segment_align: 8
    .kernarg_segment_size: 8
    .language:       OpenCL C
    .language_version:
      - 2
      - 0
    .max_flat_workgroup_size: 256
    .name:           _ZN9rocsparseL26csrgemm_group_reduce_part3ILj256ELj11ElEEvPT1_
    .private_segment_fixed_size: 0
    .sgpr_count:     8
    .sgpr_spill_count: 0
    .symbol:         _ZN9rocsparseL26csrgemm_group_reduce_part3ILj256ELj11ElEEvPT1_.kd
    .uniform_work_group_size: 1
    .uses_dynamic_stack: false
    .vgpr_count:     42
    .vgpr_spill_count: 0
    .wavefront_size: 32
    .workgroup_processor_mode: 1
  - .args:
      - .offset:         0
        .size:           8
        .value_kind:     by_value
      - .actual_access:  read_only
        .address_space:  global
        .offset:         8
        .size:           8
        .value_kind:     global_buffer
      - .actual_access:  read_only
        .address_space:  global
        .offset:         16
        .size:           8
        .value_kind:     global_buffer
      - .actual_access:  read_only
        .address_space:  global
        .offset:         24
        .size:           8
        .value_kind:     global_buffer
      - .actual_access:  read_only
        .address_space:  global
        .offset:         32
        .size:           8
        .value_kind:     global_buffer
      - .actual_access:  read_only
        .address_space:  global
        .offset:         40
        .size:           8
        .value_kind:     global_buffer
      - .actual_access:  read_only
        .address_space:  global
        .offset:         48
        .size:           8
        .value_kind:     global_buffer
      - .actual_access:  read_only
        .address_space:  global
        .offset:         56
        .size:           8
        .value_kind:     global_buffer
      - .actual_access:  read_only
        .address_space:  global
        .offset:         64
        .size:           8
        .value_kind:     global_buffer
      - .actual_access:  write_only
        .address_space:  global
        .offset:         72
        .size:           8
        .value_kind:     global_buffer
      - .offset:         80
        .size:           4
        .value_kind:     by_value
      - .offset:         84
        .size:           4
        .value_kind:     by_value
      - .offset:         88
        .size:           4
        .value_kind:     by_value
      - .offset:         92
        .size:           1
        .value_kind:     by_value
      - .offset:         93
        .size:           1
        .value_kind:     by_value
    .group_segment_fixed_size: 8192
    .kernarg_segment_align: 8
    .kernarg_segment_size: 96
    .language:       OpenCL C
    .language_version:
      - 2
      - 0
    .max_flat_workgroup_size: 128
    .name:           _ZN9rocsparseL22csrgemm_nnz_wf_per_rowILj128ELj4ELj32ELj79EilEEvT4_PKS1_S3_PKT3_S3_S6_S3_S6_S3_PS4_21rocsparse_index_base_S8_S8_bb
    .private_segment_fixed_size: 0
    .sgpr_count:     34
    .sgpr_spill_count: 0
    .symbol:         _ZN9rocsparseL22csrgemm_nnz_wf_per_rowILj128ELj4ELj32ELj79EilEEvT4_PKS1_S3_PKT3_S3_S6_S3_S6_S3_PS4_21rocsparse_index_base_S8_S8_bb.kd
    .uniform_work_group_size: 1
    .uses_dynamic_stack: false
    .vgpr_count:     16
    .vgpr_spill_count: 0
    .wavefront_size: 32
    .workgroup_processor_mode: 1
  - .args:
      - .offset:         0
        .size:           8
        .value_kind:     by_value
      - .actual_access:  read_only
        .address_space:  global
        .offset:         8
        .size:           8
        .value_kind:     global_buffer
      - .actual_access:  read_only
        .address_space:  global
        .offset:         16
        .size:           8
        .value_kind:     global_buffer
      - .actual_access:  read_only
        .address_space:  global
        .offset:         24
        .size:           8
        .value_kind:     global_buffer
      - .actual_access:  read_only
        .address_space:  global
        .offset:         32
        .size:           8
        .value_kind:     global_buffer
      - .actual_access:  read_only
        .address_space:  global
        .offset:         40
        .size:           8
        .value_kind:     global_buffer
      - .actual_access:  read_only
        .address_space:  global
        .offset:         48
        .size:           8
        .value_kind:     global_buffer
      - .actual_access:  read_only
        .address_space:  global
        .offset:         56
        .size:           8
        .value_kind:     global_buffer
      - .actual_access:  read_only
        .address_space:  global
        .offset:         64
        .size:           8
        .value_kind:     global_buffer
      - .actual_access:  write_only
        .address_space:  global
        .offset:         72
        .size:           8
        .value_kind:     global_buffer
      - .offset:         80
        .size:           4
        .value_kind:     by_value
      - .offset:         84
        .size:           4
        .value_kind:     by_value
      - .offset:         88
        .size:           4
        .value_kind:     by_value
      - .offset:         92
        .size:           1
        .value_kind:     by_value
      - .offset:         93
        .size:           1
        .value_kind:     by_value
    .group_segment_fixed_size: 16384
    .kernarg_segment_align: 8
    .kernarg_segment_size: 96
    .language:       OpenCL C
    .language_version:
      - 2
      - 0
    .max_flat_workgroup_size: 256
    .name:           _ZN9rocsparseL22csrgemm_nnz_wf_per_rowILj256ELj8ELj64ELj79EilEEvT4_PKS1_S3_PKT3_S3_S6_S3_S6_S3_PS4_21rocsparse_index_base_S8_S8_bb
    .private_segment_fixed_size: 0
    .sgpr_count:     34
    .sgpr_spill_count: 0
    .symbol:         _ZN9rocsparseL22csrgemm_nnz_wf_per_rowILj256ELj8ELj64ELj79EilEEvT4_PKS1_S3_PKT3_S3_S6_S3_S6_S3_PS4_21rocsparse_index_base_S8_S8_bb.kd
    .uniform_work_group_size: 1
    .uses_dynamic_stack: false
    .vgpr_count:     16
    .vgpr_spill_count: 0
    .wavefront_size: 32
    .workgroup_processor_mode: 1
  - .args:
      - .actual_access:  read_only
        .address_space:  global
        .offset:         0
        .size:           8
        .value_kind:     global_buffer
      - .actual_access:  read_only
        .address_space:  global
        .offset:         8
        .size:           8
        .value_kind:     global_buffer
      - .actual_access:  read_only
        .address_space:  global
        .offset:         16
        .size:           8
        .value_kind:     global_buffer
      - .actual_access:  read_only
        .address_space:  global
        .offset:         24
        .size:           8
        .value_kind:     global_buffer
      - .actual_access:  read_only
        .address_space:  global
        .offset:         32
        .size:           8
        .value_kind:     global_buffer
      - .actual_access:  read_only
        .address_space:  global
        .offset:         40
        .size:           8
        .value_kind:     global_buffer
      - .actual_access:  read_only
        .address_space:  global
        .offset:         48
        .size:           8
        .value_kind:     global_buffer
      - .actual_access:  read_only
        .address_space:  global
        .offset:         56
        .size:           8
        .value_kind:     global_buffer
      - .actual_access:  write_only
        .address_space:  global
        .offset:         64
        .size:           8
        .value_kind:     global_buffer
      - .offset:         72
        .size:           4
        .value_kind:     by_value
      - .offset:         76
        .size:           4
        .value_kind:     by_value
      - .offset:         80
        .size:           4
        .value_kind:     by_value
      - .offset:         84
        .size:           1
        .value_kind:     by_value
      - .offset:         85
        .size:           1
        .value_kind:     by_value
    .group_segment_fixed_size: 0
    .kernarg_segment_align: 8
    .kernarg_segment_size: 88
    .language:       OpenCL C
    .language_version:
      - 2
      - 0
    .max_flat_workgroup_size: 128
    .name:           _ZN9rocsparseL25csrgemm_nnz_block_per_rowILj128ELj8ELj512ELj79EilEEvPKT4_S3_PKT3_S3_S6_S3_S6_S3_PS4_21rocsparse_index_base_S8_S8_bb
    .private_segment_fixed_size: 0
    .sgpr_count:     38
    .sgpr_spill_count: 0
    .symbol:         _ZN9rocsparseL25csrgemm_nnz_block_per_rowILj128ELj8ELj512ELj79EilEEvPKT4_S3_PKT3_S3_S6_S3_S6_S3_PS4_21rocsparse_index_base_S8_S8_bb.kd
    .uniform_work_group_size: 1
    .uses_dynamic_stack: false
    .vgpr_count:     16
    .vgpr_spill_count: 0
    .wavefront_size: 32
    .workgroup_processor_mode: 1
  - .args:
      - .actual_access:  read_only
        .address_space:  global
        .offset:         0
        .size:           8
        .value_kind:     global_buffer
      - .actual_access:  read_only
        .address_space:  global
        .offset:         8
        .size:           8
        .value_kind:     global_buffer
      - .actual_access:  read_only
        .address_space:  global
        .offset:         16
        .size:           8
        .value_kind:     global_buffer
      - .actual_access:  read_only
        .address_space:  global
        .offset:         24
        .size:           8
        .value_kind:     global_buffer
      - .actual_access:  read_only
        .address_space:  global
        .offset:         32
        .size:           8
        .value_kind:     global_buffer
      - .actual_access:  read_only
        .address_space:  global
        .offset:         40
        .size:           8
        .value_kind:     global_buffer
      - .actual_access:  read_only
        .address_space:  global
        .offset:         48
        .size:           8
        .value_kind:     global_buffer
      - .actual_access:  read_only
        .address_space:  global
        .offset:         56
        .size:           8
        .value_kind:     global_buffer
      - .actual_access:  write_only
        .address_space:  global
        .offset:         64
        .size:           8
        .value_kind:     global_buffer
      - .offset:         72
        .size:           4
        .value_kind:     by_value
      - .offset:         76
        .size:           4
        .value_kind:     by_value
      - .offset:         80
        .size:           4
        .value_kind:     by_value
      - .offset:         84
        .size:           1
        .value_kind:     by_value
      - .offset:         85
        .size:           1
        .value_kind:     by_value
    .group_segment_fixed_size: 0
    .kernarg_segment_align: 8
    .kernarg_segment_size: 88
    .language:       OpenCL C
    .language_version:
      - 2
      - 0
    .max_flat_workgroup_size: 128
    .name:           _ZN9rocsparseL25csrgemm_nnz_block_per_rowILj128ELj8ELj1024ELj79EilEEvPKT4_S3_PKT3_S3_S6_S3_S6_S3_PS4_21rocsparse_index_base_S8_S8_bb
    .private_segment_fixed_size: 0
    .sgpr_count:     31
    .sgpr_spill_count: 0
    .symbol:         _ZN9rocsparseL25csrgemm_nnz_block_per_rowILj128ELj8ELj1024ELj79EilEEvPKT4_S3_PKT3_S3_S6_S3_S6_S3_PS4_21rocsparse_index_base_S8_S8_bb.kd
    .uniform_work_group_size: 1
    .uses_dynamic_stack: false
    .vgpr_count:     16
    .vgpr_spill_count: 0
    .wavefront_size: 32
    .workgroup_processor_mode: 1
  - .args:
      - .actual_access:  read_only
        .address_space:  global
        .offset:         0
        .size:           8
        .value_kind:     global_buffer
      - .actual_access:  read_only
        .address_space:  global
        .offset:         8
        .size:           8
        .value_kind:     global_buffer
      - .actual_access:  read_only
        .address_space:  global
        .offset:         16
        .size:           8
        .value_kind:     global_buffer
      - .actual_access:  read_only
        .address_space:  global
        .offset:         24
        .size:           8
        .value_kind:     global_buffer
      - .actual_access:  read_only
        .address_space:  global
        .offset:         32
        .size:           8
        .value_kind:     global_buffer
      - .actual_access:  read_only
        .address_space:  global
        .offset:         40
        .size:           8
        .value_kind:     global_buffer
      - .actual_access:  read_only
        .address_space:  global
        .offset:         48
        .size:           8
        .value_kind:     global_buffer
      - .actual_access:  read_only
        .address_space:  global
        .offset:         56
        .size:           8
        .value_kind:     global_buffer
      - .actual_access:  write_only
        .address_space:  global
        .offset:         64
        .size:           8
        .value_kind:     global_buffer
      - .offset:         72
        .size:           4
        .value_kind:     by_value
      - .offset:         76
        .size:           4
        .value_kind:     by_value
      - .offset:         80
        .size:           4
        .value_kind:     by_value
      - .offset:         84
        .size:           1
        .value_kind:     by_value
      - .offset:         85
        .size:           1
        .value_kind:     by_value
    .group_segment_fixed_size: 0
    .kernarg_segment_align: 8
    .kernarg_segment_size: 88
    .language:       OpenCL C
    .language_version:
      - 2
      - 0
    .max_flat_workgroup_size: 256
    .name:           _ZN9rocsparseL25csrgemm_nnz_block_per_rowILj256ELj16ELj2048ELj79EilEEvPKT4_S3_PKT3_S3_S6_S3_S6_S3_PS4_21rocsparse_index_base_S8_S8_bb
    .private_segment_fixed_size: 0
    .sgpr_count:     31
    .sgpr_spill_count: 0
    .symbol:         _ZN9rocsparseL25csrgemm_nnz_block_per_rowILj256ELj16ELj2048ELj79EilEEvPKT4_S3_PKT3_S3_S6_S3_S6_S3_PS4_21rocsparse_index_base_S8_S8_bb.kd
    .uniform_work_group_size: 1
    .uses_dynamic_stack: false
    .vgpr_count:     16
    .vgpr_spill_count: 0
    .wavefront_size: 32
    .workgroup_processor_mode: 1
  - .args:
      - .actual_access:  read_only
        .address_space:  global
        .offset:         0
        .size:           8
        .value_kind:     global_buffer
      - .actual_access:  read_only
        .address_space:  global
        .offset:         8
        .size:           8
        .value_kind:     global_buffer
      - .actual_access:  read_only
        .address_space:  global
        .offset:         16
        .size:           8
        .value_kind:     global_buffer
      - .actual_access:  read_only
        .address_space:  global
        .offset:         24
        .size:           8
        .value_kind:     global_buffer
      - .actual_access:  read_only
        .address_space:  global
        .offset:         32
        .size:           8
        .value_kind:     global_buffer
      - .actual_access:  read_only
        .address_space:  global
        .offset:         40
        .size:           8
        .value_kind:     global_buffer
      - .actual_access:  read_only
        .address_space:  global
        .offset:         48
        .size:           8
        .value_kind:     global_buffer
      - .actual_access:  read_only
        .address_space:  global
        .offset:         56
        .size:           8
        .value_kind:     global_buffer
      - .actual_access:  write_only
        .address_space:  global
        .offset:         64
        .size:           8
        .value_kind:     global_buffer
      - .offset:         72
        .size:           4
        .value_kind:     by_value
      - .offset:         76
        .size:           4
        .value_kind:     by_value
      - .offset:         80
        .size:           4
        .value_kind:     by_value
      - .offset:         84
        .size:           1
        .value_kind:     by_value
      - .offset:         85
        .size:           1
        .value_kind:     by_value
    .group_segment_fixed_size: 0
    .kernarg_segment_align: 8
    .kernarg_segment_size: 88
    .language:       OpenCL C
    .language_version:
      - 2
      - 0
    .max_flat_workgroup_size: 512
    .name:           _ZN9rocsparseL25csrgemm_nnz_block_per_rowILj512ELj16ELj4096ELj79EilEEvPKT4_S3_PKT3_S3_S6_S3_S6_S3_PS4_21rocsparse_index_base_S8_S8_bb
    .private_segment_fixed_size: 0
    .sgpr_count:     31
    .sgpr_spill_count: 0
    .symbol:         _ZN9rocsparseL25csrgemm_nnz_block_per_rowILj512ELj16ELj4096ELj79EilEEvPKT4_S3_PKT3_S3_S6_S3_S6_S3_PS4_21rocsparse_index_base_S8_S8_bb.kd
    .uniform_work_group_size: 1
    .uses_dynamic_stack: false
    .vgpr_count:     16
    .vgpr_spill_count: 0
    .wavefront_size: 32
    .workgroup_processor_mode: 1
  - .args:
      - .actual_access:  read_only
        .address_space:  global
        .offset:         0
        .size:           8
        .value_kind:     global_buffer
      - .actual_access:  read_only
        .address_space:  global
        .offset:         8
        .size:           8
        .value_kind:     global_buffer
      - .actual_access:  read_only
        .address_space:  global
        .offset:         16
        .size:           8
        .value_kind:     global_buffer
      - .actual_access:  read_only
        .address_space:  global
        .offset:         24
        .size:           8
        .value_kind:     global_buffer
      - .actual_access:  read_only
        .address_space:  global
        .offset:         32
        .size:           8
        .value_kind:     global_buffer
      - .actual_access:  read_only
        .address_space:  global
        .offset:         40
        .size:           8
        .value_kind:     global_buffer
      - .actual_access:  read_only
        .address_space:  global
        .offset:         48
        .size:           8
        .value_kind:     global_buffer
      - .actual_access:  read_only
        .address_space:  global
        .offset:         56
        .size:           8
        .value_kind:     global_buffer
      - .actual_access:  write_only
        .address_space:  global
        .offset:         64
        .size:           8
        .value_kind:     global_buffer
      - .offset:         72
        .size:           4
        .value_kind:     by_value
      - .offset:         76
        .size:           4
        .value_kind:     by_value
      - .offset:         80
        .size:           4
        .value_kind:     by_value
      - .offset:         84
        .size:           1
        .value_kind:     by_value
      - .offset:         85
        .size:           1
        .value_kind:     by_value
    .group_segment_fixed_size: 0
    .kernarg_segment_align: 8
    .kernarg_segment_size: 88
    .language:       OpenCL C
    .language_version:
      - 2
      - 0
    .max_flat_workgroup_size: 1024
    .name:           _ZN9rocsparseL25csrgemm_nnz_block_per_rowILj1024ELj32ELj8192ELj79EilEEvPKT4_S3_PKT3_S3_S6_S3_S6_S3_PS4_21rocsparse_index_base_S8_S8_bb
    .private_segment_fixed_size: 0
    .sgpr_count:     31
    .sgpr_spill_count: 0
    .symbol:         _ZN9rocsparseL25csrgemm_nnz_block_per_rowILj1024ELj32ELj8192ELj79EilEEvPKT4_S3_PKT3_S3_S6_S3_S6_S3_PS4_21rocsparse_index_base_S8_S8_bb.kd
    .uniform_work_group_size: 1
    .uses_dynamic_stack: false
    .vgpr_count:     16
    .vgpr_spill_count: 0
    .wavefront_size: 32
    .workgroup_processor_mode: 1
  - .args:
      - .actual_access:  read_only
        .address_space:  global
        .offset:         0
        .size:           8
        .value_kind:     global_buffer
      - .actual_access:  read_only
        .address_space:  global
        .offset:         8
        .size:           8
        .value_kind:     global_buffer
      - .actual_access:  read_only
        .address_space:  global
        .offset:         16
        .size:           8
        .value_kind:     global_buffer
      - .actual_access:  read_only
        .address_space:  global
        .offset:         24
        .size:           8
        .value_kind:     global_buffer
      - .actual_access:  read_only
        .address_space:  global
        .offset:         32
        .size:           8
        .value_kind:     global_buffer
      - .actual_access:  read_only
        .address_space:  global
        .offset:         40
        .size:           8
        .value_kind:     global_buffer
      - .actual_access:  read_only
        .address_space:  global
        .offset:         48
        .size:           8
        .value_kind:     global_buffer
      - .actual_access:  read_only
        .address_space:  global
        .offset:         56
        .size:           8
        .value_kind:     global_buffer
      - .actual_access:  write_only
        .address_space:  global
        .offset:         64
        .size:           8
        .value_kind:     global_buffer
      - .offset:         72
        .size:           4
        .value_kind:     by_value
      - .offset:         76
        .size:           4
        .value_kind:     by_value
      - .offset:         80
        .size:           4
        .value_kind:     by_value
      - .offset:         84
        .size:           1
        .value_kind:     by_value
      - .offset:         85
        .size:           1
        .value_kind:     by_value
    .group_segment_fixed_size: 0
    .kernarg_segment_align: 8
    .kernarg_segment_size: 88
    .language:       OpenCL C
    .language_version:
      - 2
      - 0
    .max_flat_workgroup_size: 1024
    .name:           _ZN9rocsparseL25csrgemm_nnz_block_per_rowILj1024ELj32ELj16384ELj79EilEEvPKT4_S3_PKT3_S3_S6_S3_S6_S3_PS4_21rocsparse_index_base_S8_S8_bb
    .private_segment_fixed_size: 0
    .sgpr_count:     38
    .sgpr_spill_count: 0
    .symbol:         _ZN9rocsparseL25csrgemm_nnz_block_per_rowILj1024ELj32ELj16384ELj79EilEEvPKT4_S3_PKT3_S3_S6_S3_S6_S3_PS4_21rocsparse_index_base_S8_S8_bb.kd
    .uniform_work_group_size: 1
    .uses_dynamic_stack: false
    .vgpr_count:     15
    .vgpr_spill_count: 0
    .wavefront_size: 32
    .workgroup_processor_mode: 1
  - .args:
      - .actual_access:  read_only
        .address_space:  global
        .offset:         0
        .size:           8
        .value_kind:     global_buffer
      - .actual_access:  read_only
        .address_space:  global
        .offset:         8
        .size:           8
        .value_kind:     global_buffer
      - .actual_access:  read_only
        .address_space:  global
        .offset:         16
        .size:           8
        .value_kind:     global_buffer
      - .actual_access:  read_only
        .address_space:  global
        .offset:         24
        .size:           8
        .value_kind:     global_buffer
      - .actual_access:  read_only
        .address_space:  global
        .offset:         32
        .size:           8
        .value_kind:     global_buffer
      - .actual_access:  read_only
        .address_space:  global
        .offset:         40
        .size:           8
        .value_kind:     global_buffer
      - .actual_access:  read_only
        .address_space:  global
        .offset:         48
        .size:           8
        .value_kind:     global_buffer
      - .actual_access:  read_only
        .address_space:  global
        .offset:         56
        .size:           8
        .value_kind:     global_buffer
      - .actual_access:  write_only
        .address_space:  global
        .offset:         64
        .size:           8
        .value_kind:     global_buffer
      - .offset:         72
        .size:           4
        .value_kind:     by_value
      - .offset:         76
        .size:           4
        .value_kind:     by_value
      - .offset:         80
        .size:           4
        .value_kind:     by_value
      - .offset:         84
        .size:           1
        .value_kind:     by_value
      - .offset:         85
        .size:           1
        .value_kind:     by_value
    .group_segment_fixed_size: 0
    .kernarg_segment_align: 8
    .kernarg_segment_size: 88
    .language:       OpenCL C
    .language_version:
      - 2
      - 0
    .max_flat_workgroup_size: 1024
    .name:           _ZN9rocsparseL25csrgemm_nnz_block_per_rowILj1024ELj32ELj32768ELj79EilEEvPKT4_S3_PKT3_S3_S6_S3_S6_S3_PS4_21rocsparse_index_base_S8_S8_bb
    .private_segment_fixed_size: 0
    .sgpr_count:     38
    .sgpr_spill_count: 0
    .symbol:         _ZN9rocsparseL25csrgemm_nnz_block_per_rowILj1024ELj32ELj32768ELj79EilEEvPKT4_S3_PKT3_S3_S6_S3_S6_S3_PS4_21rocsparse_index_base_S8_S8_bb.kd
    .uniform_work_group_size: 1
    .uses_dynamic_stack: false
    .vgpr_count:     15
    .vgpr_spill_count: 0
    .wavefront_size: 32
    .workgroup_processor_mode: 1
  - .args:
      - .actual_access:  read_only
        .address_space:  global
        .offset:         0
        .size:           8
        .value_kind:     global_buffer
      - .actual_access:  read_only
        .address_space:  global
        .offset:         8
        .size:           8
        .value_kind:     global_buffer
      - .actual_access:  read_only
        .address_space:  global
        .offset:         16
        .size:           8
        .value_kind:     global_buffer
      - .actual_access:  read_only
        .address_space:  global
        .offset:         24
        .size:           8
        .value_kind:     global_buffer
      - .actual_access:  read_only
        .address_space:  global
        .offset:         32
        .size:           8
        .value_kind:     global_buffer
      - .actual_access:  read_only
        .address_space:  global
        .offset:         40
        .size:           8
        .value_kind:     global_buffer
      - .actual_access:  read_only
        .address_space:  global
        .offset:         48
        .size:           8
        .value_kind:     global_buffer
      - .actual_access:  read_only
        .address_space:  global
        .offset:         56
        .size:           8
        .value_kind:     global_buffer
      - .actual_access:  write_only
        .address_space:  global
        .offset:         64
        .size:           8
        .value_kind:     global_buffer
      - .offset:         72
        .size:           4
        .value_kind:     by_value
      - .offset:         76
        .size:           4
        .value_kind:     by_value
      - .offset:         80
        .size:           4
        .value_kind:     by_value
      - .offset:         84
        .size:           1
        .value_kind:     by_value
      - .offset:         85
        .size:           1
        .value_kind:     by_value
    .group_segment_fixed_size: 0
    .kernarg_segment_align: 8
    .kernarg_segment_size: 88
    .language:       OpenCL C
    .language_version:
      - 2
      - 0
    .max_flat_workgroup_size: 1024
    .name:           _ZN9rocsparseL25csrgemm_nnz_block_per_rowILj1024ELj32ELj65536ELj79EilEEvPKT4_S3_PKT3_S3_S6_S3_S6_S3_PS4_21rocsparse_index_base_S8_S8_bb
    .private_segment_fixed_size: 0
    .sgpr_count:     38
    .sgpr_spill_count: 0
    .symbol:         _ZN9rocsparseL25csrgemm_nnz_block_per_rowILj1024ELj32ELj65536ELj79EilEEvPKT4_S3_PKT3_S3_S6_S3_S6_S3_PS4_21rocsparse_index_base_S8_S8_bb.kd
    .uniform_work_group_size: 1
    .uses_dynamic_stack: false
    .vgpr_count:     15
    .vgpr_spill_count: 0
    .wavefront_size: 32
    .workgroup_processor_mode: 1
  - .args:
      - .offset:         0
        .size:           8
        .value_kind:     by_value
      - .actual_access:  read_only
        .address_space:  global
        .offset:         8
        .size:           8
        .value_kind:     global_buffer
      - .actual_access:  read_only
        .address_space:  global
        .offset:         16
        .size:           8
        .value_kind:     global_buffer
      - .actual_access:  read_only
        .address_space:  global
        .offset:         24
        .size:           8
        .value_kind:     global_buffer
      - .actual_access:  read_only
        .address_space:  global
        .offset:         32
        .size:           8
        .value_kind:     global_buffer
      - .actual_access:  read_only
        .address_space:  global
        .offset:         40
        .size:           8
        .value_kind:     global_buffer
      - .actual_access:  read_only
        .address_space:  global
        .offset:         48
        .size:           8
        .value_kind:     global_buffer
      - .actual_access:  read_only
        .address_space:  global
        .offset:         56
        .size:           8
        .value_kind:     global_buffer
      - .actual_access:  read_only
        .address_space:  global
        .offset:         64
        .size:           8
        .value_kind:     global_buffer
      - .actual_access:  write_only
        .address_space:  global
        .offset:         72
        .size:           8
        .value_kind:     global_buffer
      - .address_space:  global
        .offset:         80
        .size:           8
        .value_kind:     global_buffer
      - .offset:         88
        .size:           4
        .value_kind:     by_value
      - .offset:         92
        .size:           4
        .value_kind:     by_value
      - .offset:         96
        .size:           4
        .value_kind:     by_value
      - .offset:         100
        .size:           1
        .value_kind:     by_value
      - .offset:         101
        .size:           1
        .value_kind:     by_value
    .group_segment_fixed_size: 2064
    .kernarg_segment_align: 8
    .kernarg_segment_size: 104
    .language:       OpenCL C
    .language_version:
      - 2
      - 0
    .max_flat_workgroup_size: 512
    .name:           _ZN9rocsparseL35csrgemm_nnz_block_per_row_multipassILj512ELj16ELj2048EilEEvT3_PKS1_S3_PKT2_S3_S6_S3_S6_S3_PS4_S7_21rocsparse_index_base_S8_S8_bb
    .private_segment_fixed_size: 0
    .sgpr_count:     44
    .sgpr_spill_count: 0
    .symbol:         _ZN9rocsparseL35csrgemm_nnz_block_per_row_multipassILj512ELj16ELj2048EilEEvT3_PKS1_S3_PKT2_S3_S6_S3_S6_S3_PS4_S7_21rocsparse_index_base_S8_S8_bb.kd
    .uniform_work_group_size: 1
    .uses_dynamic_stack: false
    .vgpr_count:     27
    .vgpr_spill_count: 0
    .wavefront_size: 32
    .workgroup_processor_mode: 1
  - .args:
      - .offset:         0
        .size:           4
        .value_kind:     by_value
      - .actual_access:  read_only
        .address_space:  global
        .offset:         8
        .size:           8
        .value_kind:     global_buffer
      - .actual_access:  read_only
        .address_space:  global
        .offset:         16
        .size:           8
        .value_kind:     global_buffer
      - .actual_access:  read_only
        .address_space:  global
        .offset:         24
        .size:           8
        .value_kind:     global_buffer
      - .actual_access:  read_only
        .address_space:  global
        .offset:         32
        .size:           8
        .value_kind:     global_buffer
      - .actual_access:  write_only
        .address_space:  global
        .offset:         40
        .size:           8
        .value_kind:     global_buffer
      - .offset:         48
        .size:           4
        .value_kind:     by_value
      - .offset:         52
        .size:           1
        .value_kind:     by_value
      - .offset:         53
        .size:           1
        .value_kind:     by_value
    .group_segment_fixed_size: 0
    .kernarg_segment_align: 8
    .kernarg_segment_size: 56
    .language:       OpenCL C
    .language_version:
      - 2
      - 0
    .max_flat_workgroup_size: 256
    .name:           _ZN9rocsparseL29csrgemm_intermediate_productsILj256ELj8EliEEvT2_PKT1_PKS1_S4_S4_PS2_21rocsparse_index_base_bb
    .private_segment_fixed_size: 0
    .sgpr_count:     18
    .sgpr_spill_count: 0
    .symbol:         _ZN9rocsparseL29csrgemm_intermediate_productsILj256ELj8EliEEvT2_PKT1_PKS1_S4_S4_PS2_21rocsparse_index_base_bb.kd
    .uniform_work_group_size: 1
    .uses_dynamic_stack: false
    .vgpr_count:     14
    .vgpr_spill_count: 0
    .wavefront_size: 32
    .workgroup_processor_mode: 1
  - .args:
      - .offset:         0
        .size:           4
        .value_kind:     by_value
      - .address_space:  global
        .offset:         8
        .size:           8
        .value_kind:     global_buffer
      - .actual_access:  write_only
        .address_space:  global
        .offset:         16
        .size:           8
        .value_kind:     global_buffer
      - .offset:         24
        .size:           4
        .value_kind:     by_value
      - .offset:         32
        .size:           4
        .value_kind:     hidden_block_count_x
      - .offset:         36
        .size:           4
        .value_kind:     hidden_block_count_y
      - .offset:         40
        .size:           4
        .value_kind:     hidden_block_count_z
      - .offset:         44
        .size:           2
        .value_kind:     hidden_group_size_x
      - .offset:         46
        .size:           2
        .value_kind:     hidden_group_size_y
      - .offset:         48
        .size:           2
        .value_kind:     hidden_group_size_z
      - .offset:         50
        .size:           2
        .value_kind:     hidden_remainder_x
      - .offset:         52
        .size:           2
        .value_kind:     hidden_remainder_y
      - .offset:         54
        .size:           2
        .value_kind:     hidden_remainder_z
      - .offset:         72
        .size:           8
        .value_kind:     hidden_global_offset_x
      - .offset:         80
        .size:           8
        .value_kind:     hidden_global_offset_y
      - .offset:         88
        .size:           8
        .value_kind:     hidden_global_offset_z
      - .offset:         96
        .size:           2
        .value_kind:     hidden_grid_dims
    .group_segment_fixed_size: 11264
    .kernarg_segment_align: 8
    .kernarg_segment_size: 288
    .language:       OpenCL C
    .language_version:
      - 2
      - 0
    .max_flat_workgroup_size: 256
    .name:           _ZN9rocsparseL26csrgemm_group_reduce_part1ILj256ELj11EliEEvT2_PT1_PS1_j
    .private_segment_fixed_size: 0
    .sgpr_count:     24
    .sgpr_spill_count: 0
    .symbol:         _ZN9rocsparseL26csrgemm_group_reduce_part1ILj256ELj11EliEEvT2_PT1_PS1_j.kd
    .uniform_work_group_size: 1
    .uses_dynamic_stack: false
    .vgpr_count:     25
    .vgpr_spill_count: 0
    .wavefront_size: 32
    .workgroup_processor_mode: 1
  - .args:
      - .offset:         0
        .size:           4
        .value_kind:     by_value
      - .actual_access:  read_only
        .address_space:  global
        .offset:         8
        .size:           8
        .value_kind:     global_buffer
      - .actual_access:  read_only
        .address_space:  global
        .offset:         16
        .size:           8
        .value_kind:     global_buffer
      - .actual_access:  read_only
        .address_space:  global
        .offset:         24
        .size:           8
        .value_kind:     global_buffer
      - .actual_access:  read_only
        .address_space:  global
        .offset:         32
        .size:           8
        .value_kind:     global_buffer
      - .actual_access:  read_only
        .address_space:  global
        .offset:         40
        .size:           8
        .value_kind:     global_buffer
      - .actual_access:  read_only
        .address_space:  global
        .offset:         48
        .size:           8
        .value_kind:     global_buffer
      - .actual_access:  read_only
        .address_space:  global
        .offset:         56
        .size:           8
        .value_kind:     global_buffer
      - .actual_access:  read_only
        .address_space:  global
        .offset:         64
        .size:           8
        .value_kind:     global_buffer
      - .actual_access:  write_only
        .address_space:  global
        .offset:         72
        .size:           8
        .value_kind:     global_buffer
      - .offset:         80
        .size:           4
        .value_kind:     by_value
      - .offset:         84
        .size:           4
        .value_kind:     by_value
      - .offset:         88
        .size:           4
        .value_kind:     by_value
      - .offset:         92
        .size:           1
        .value_kind:     by_value
      - .offset:         93
        .size:           1
        .value_kind:     by_value
    .group_segment_fixed_size: 4096
    .kernarg_segment_align: 8
    .kernarg_segment_size: 96
    .language:       OpenCL C
    .language_version:
      - 2
      - 0
    .max_flat_workgroup_size: 128
    .name:           _ZN9rocsparseL22csrgemm_nnz_wf_per_rowILj128ELj4ELj32ELj79EliEEvT4_PKS1_S3_PKT3_S3_S6_S3_S6_S3_PS4_21rocsparse_index_base_S8_S8_bb
    .private_segment_fixed_size: 0
    .sgpr_count:     34
    .sgpr_spill_count: 0
    .symbol:         _ZN9rocsparseL22csrgemm_nnz_wf_per_rowILj128ELj4ELj32ELj79EliEEvT4_PKS1_S3_PKT3_S3_S6_S3_S6_S3_PS4_21rocsparse_index_base_S8_S8_bb.kd
    .uniform_work_group_size: 1
    .uses_dynamic_stack: false
    .vgpr_count:     18
    .vgpr_spill_count: 0
    .wavefront_size: 32
    .workgroup_processor_mode: 1
  - .args:
      - .offset:         0
        .size:           4
        .value_kind:     by_value
      - .actual_access:  read_only
        .address_space:  global
        .offset:         8
        .size:           8
        .value_kind:     global_buffer
      - .actual_access:  read_only
        .address_space:  global
        .offset:         16
        .size:           8
        .value_kind:     global_buffer
      - .actual_access:  read_only
        .address_space:  global
        .offset:         24
        .size:           8
        .value_kind:     global_buffer
      - .actual_access:  read_only
        .address_space:  global
        .offset:         32
        .size:           8
        .value_kind:     global_buffer
      - .actual_access:  read_only
        .address_space:  global
        .offset:         40
        .size:           8
        .value_kind:     global_buffer
      - .actual_access:  read_only
        .address_space:  global
        .offset:         48
        .size:           8
        .value_kind:     global_buffer
      - .actual_access:  read_only
        .address_space:  global
        .offset:         56
        .size:           8
        .value_kind:     global_buffer
      - .actual_access:  read_only
        .address_space:  global
        .offset:         64
        .size:           8
        .value_kind:     global_buffer
      - .actual_access:  write_only
        .address_space:  global
        .offset:         72
        .size:           8
        .value_kind:     global_buffer
      - .offset:         80
        .size:           4
        .value_kind:     by_value
      - .offset:         84
        .size:           4
        .value_kind:     by_value
      - .offset:         88
        .size:           4
        .value_kind:     by_value
      - .offset:         92
        .size:           1
        .value_kind:     by_value
      - .offset:         93
        .size:           1
        .value_kind:     by_value
    .group_segment_fixed_size: 8192
    .kernarg_segment_align: 8
    .kernarg_segment_size: 96
    .language:       OpenCL C
    .language_version:
      - 2
      - 0
    .max_flat_workgroup_size: 256
    .name:           _ZN9rocsparseL22csrgemm_nnz_wf_per_rowILj256ELj8ELj64ELj79EliEEvT4_PKS1_S3_PKT3_S3_S6_S3_S6_S3_PS4_21rocsparse_index_base_S8_S8_bb
    .private_segment_fixed_size: 0
    .sgpr_count:     34
    .sgpr_spill_count: 0
    .symbol:         _ZN9rocsparseL22csrgemm_nnz_wf_per_rowILj256ELj8ELj64ELj79EliEEvT4_PKS1_S3_PKT3_S3_S6_S3_S6_S3_PS4_21rocsparse_index_base_S8_S8_bb.kd
    .uniform_work_group_size: 1
    .uses_dynamic_stack: false
    .vgpr_count:     18
    .vgpr_spill_count: 0
    .wavefront_size: 32
    .workgroup_processor_mode: 1
  - .args:
      - .actual_access:  read_only
        .address_space:  global
        .offset:         0
        .size:           8
        .value_kind:     global_buffer
      - .actual_access:  read_only
        .address_space:  global
        .offset:         8
        .size:           8
        .value_kind:     global_buffer
      - .actual_access:  read_only
        .address_space:  global
        .offset:         16
        .size:           8
        .value_kind:     global_buffer
      - .actual_access:  read_only
        .address_space:  global
        .offset:         24
        .size:           8
        .value_kind:     global_buffer
      - .actual_access:  read_only
        .address_space:  global
        .offset:         32
        .size:           8
        .value_kind:     global_buffer
      - .actual_access:  read_only
        .address_space:  global
        .offset:         40
        .size:           8
        .value_kind:     global_buffer
      - .actual_access:  read_only
        .address_space:  global
        .offset:         48
        .size:           8
        .value_kind:     global_buffer
      - .actual_access:  read_only
        .address_space:  global
        .offset:         56
        .size:           8
        .value_kind:     global_buffer
      - .actual_access:  write_only
        .address_space:  global
        .offset:         64
        .size:           8
        .value_kind:     global_buffer
      - .offset:         72
        .size:           4
        .value_kind:     by_value
      - .offset:         76
        .size:           4
        .value_kind:     by_value
      - .offset:         80
        .size:           4
        .value_kind:     by_value
      - .offset:         84
        .size:           1
        .value_kind:     by_value
      - .offset:         85
        .size:           1
        .value_kind:     by_value
    .group_segment_fixed_size: 0
    .kernarg_segment_align: 8
    .kernarg_segment_size: 88
    .language:       OpenCL C
    .language_version:
      - 2
      - 0
    .max_flat_workgroup_size: 128
    .name:           _ZN9rocsparseL25csrgemm_nnz_block_per_rowILj128ELj8ELj512ELj79EliEEvPKT4_S3_PKT3_S3_S6_S3_S6_S3_PS4_21rocsparse_index_base_S8_S8_bb
    .private_segment_fixed_size: 0
    .sgpr_count:     38
    .sgpr_spill_count: 0
    .symbol:         _ZN9rocsparseL25csrgemm_nnz_block_per_rowILj128ELj8ELj512ELj79EliEEvPKT4_S3_PKT3_S3_S6_S3_S6_S3_PS4_21rocsparse_index_base_S8_S8_bb.kd
    .uniform_work_group_size: 1
    .uses_dynamic_stack: false
    .vgpr_count:     18
    .vgpr_spill_count: 0
    .wavefront_size: 32
    .workgroup_processor_mode: 1
  - .args:
      - .actual_access:  read_only
        .address_space:  global
        .offset:         0
        .size:           8
        .value_kind:     global_buffer
      - .actual_access:  read_only
        .address_space:  global
        .offset:         8
        .size:           8
        .value_kind:     global_buffer
      - .actual_access:  read_only
        .address_space:  global
        .offset:         16
        .size:           8
        .value_kind:     global_buffer
      - .actual_access:  read_only
        .address_space:  global
        .offset:         24
        .size:           8
        .value_kind:     global_buffer
      - .actual_access:  read_only
        .address_space:  global
        .offset:         32
        .size:           8
        .value_kind:     global_buffer
      - .actual_access:  read_only
        .address_space:  global
        .offset:         40
        .size:           8
        .value_kind:     global_buffer
      - .actual_access:  read_only
        .address_space:  global
        .offset:         48
        .size:           8
        .value_kind:     global_buffer
      - .actual_access:  read_only
        .address_space:  global
        .offset:         56
        .size:           8
        .value_kind:     global_buffer
      - .actual_access:  write_only
        .address_space:  global
        .offset:         64
        .size:           8
        .value_kind:     global_buffer
      - .offset:         72
        .size:           4
        .value_kind:     by_value
      - .offset:         76
        .size:           4
        .value_kind:     by_value
      - .offset:         80
        .size:           4
        .value_kind:     by_value
      - .offset:         84
        .size:           1
        .value_kind:     by_value
      - .offset:         85
        .size:           1
        .value_kind:     by_value
    .group_segment_fixed_size: 0
    .kernarg_segment_align: 8
    .kernarg_segment_size: 88
    .language:       OpenCL C
    .language_version:
      - 2
      - 0
    .max_flat_workgroup_size: 128
    .name:           _ZN9rocsparseL25csrgemm_nnz_block_per_rowILj128ELj8ELj1024ELj79EliEEvPKT4_S3_PKT3_S3_S6_S3_S6_S3_PS4_21rocsparse_index_base_S8_S8_bb
    .private_segment_fixed_size: 0
    .sgpr_count:     31
    .sgpr_spill_count: 0
    .symbol:         _ZN9rocsparseL25csrgemm_nnz_block_per_rowILj128ELj8ELj1024ELj79EliEEvPKT4_S3_PKT3_S3_S6_S3_S6_S3_PS4_21rocsparse_index_base_S8_S8_bb.kd
    .uniform_work_group_size: 1
    .uses_dynamic_stack: false
    .vgpr_count:     18
    .vgpr_spill_count: 0
    .wavefront_size: 32
    .workgroup_processor_mode: 1
  - .args:
      - .actual_access:  read_only
        .address_space:  global
        .offset:         0
        .size:           8
        .value_kind:     global_buffer
      - .actual_access:  read_only
        .address_space:  global
        .offset:         8
        .size:           8
        .value_kind:     global_buffer
      - .actual_access:  read_only
        .address_space:  global
        .offset:         16
        .size:           8
        .value_kind:     global_buffer
      - .actual_access:  read_only
        .address_space:  global
        .offset:         24
        .size:           8
        .value_kind:     global_buffer
      - .actual_access:  read_only
        .address_space:  global
        .offset:         32
        .size:           8
        .value_kind:     global_buffer
      - .actual_access:  read_only
        .address_space:  global
        .offset:         40
        .size:           8
        .value_kind:     global_buffer
      - .actual_access:  read_only
        .address_space:  global
        .offset:         48
        .size:           8
        .value_kind:     global_buffer
      - .actual_access:  read_only
        .address_space:  global
        .offset:         56
        .size:           8
        .value_kind:     global_buffer
      - .actual_access:  write_only
        .address_space:  global
        .offset:         64
        .size:           8
        .value_kind:     global_buffer
      - .offset:         72
        .size:           4
        .value_kind:     by_value
      - .offset:         76
        .size:           4
        .value_kind:     by_value
      - .offset:         80
        .size:           4
        .value_kind:     by_value
      - .offset:         84
        .size:           1
        .value_kind:     by_value
      - .offset:         85
        .size:           1
        .value_kind:     by_value
    .group_segment_fixed_size: 0
    .kernarg_segment_align: 8
    .kernarg_segment_size: 88
    .language:       OpenCL C
    .language_version:
      - 2
      - 0
    .max_flat_workgroup_size: 256
    .name:           _ZN9rocsparseL25csrgemm_nnz_block_per_rowILj256ELj16ELj2048ELj79EliEEvPKT4_S3_PKT3_S3_S6_S3_S6_S3_PS4_21rocsparse_index_base_S8_S8_bb
    .private_segment_fixed_size: 0
    .sgpr_count:     31
    .sgpr_spill_count: 0
    .symbol:         _ZN9rocsparseL25csrgemm_nnz_block_per_rowILj256ELj16ELj2048ELj79EliEEvPKT4_S3_PKT3_S3_S6_S3_S6_S3_PS4_21rocsparse_index_base_S8_S8_bb.kd
    .uniform_work_group_size: 1
    .uses_dynamic_stack: false
    .vgpr_count:     18
    .vgpr_spill_count: 0
    .wavefront_size: 32
    .workgroup_processor_mode: 1
  - .args:
      - .actual_access:  read_only
        .address_space:  global
        .offset:         0
        .size:           8
        .value_kind:     global_buffer
      - .actual_access:  read_only
        .address_space:  global
        .offset:         8
        .size:           8
        .value_kind:     global_buffer
      - .actual_access:  read_only
        .address_space:  global
        .offset:         16
        .size:           8
        .value_kind:     global_buffer
      - .actual_access:  read_only
        .address_space:  global
        .offset:         24
        .size:           8
        .value_kind:     global_buffer
      - .actual_access:  read_only
        .address_space:  global
        .offset:         32
        .size:           8
        .value_kind:     global_buffer
      - .actual_access:  read_only
        .address_space:  global
        .offset:         40
        .size:           8
        .value_kind:     global_buffer
      - .actual_access:  read_only
        .address_space:  global
        .offset:         48
        .size:           8
        .value_kind:     global_buffer
      - .actual_access:  read_only
        .address_space:  global
        .offset:         56
        .size:           8
        .value_kind:     global_buffer
      - .actual_access:  write_only
        .address_space:  global
        .offset:         64
        .size:           8
        .value_kind:     global_buffer
      - .offset:         72
        .size:           4
        .value_kind:     by_value
      - .offset:         76
        .size:           4
        .value_kind:     by_value
      - .offset:         80
        .size:           4
        .value_kind:     by_value
      - .offset:         84
        .size:           1
        .value_kind:     by_value
      - .offset:         85
        .size:           1
        .value_kind:     by_value
    .group_segment_fixed_size: 0
    .kernarg_segment_align: 8
    .kernarg_segment_size: 88
    .language:       OpenCL C
    .language_version:
      - 2
      - 0
    .max_flat_workgroup_size: 512
    .name:           _ZN9rocsparseL25csrgemm_nnz_block_per_rowILj512ELj16ELj4096ELj79EliEEvPKT4_S3_PKT3_S3_S6_S3_S6_S3_PS4_21rocsparse_index_base_S8_S8_bb
    .private_segment_fixed_size: 0
    .sgpr_count:     31
    .sgpr_spill_count: 0
    .symbol:         _ZN9rocsparseL25csrgemm_nnz_block_per_rowILj512ELj16ELj4096ELj79EliEEvPKT4_S3_PKT3_S3_S6_S3_S6_S3_PS4_21rocsparse_index_base_S8_S8_bb.kd
    .uniform_work_group_size: 1
    .uses_dynamic_stack: false
    .vgpr_count:     18
    .vgpr_spill_count: 0
    .wavefront_size: 32
    .workgroup_processor_mode: 1
  - .args:
      - .actual_access:  read_only
        .address_space:  global
        .offset:         0
        .size:           8
        .value_kind:     global_buffer
      - .actual_access:  read_only
        .address_space:  global
        .offset:         8
        .size:           8
        .value_kind:     global_buffer
      - .actual_access:  read_only
        .address_space:  global
        .offset:         16
        .size:           8
        .value_kind:     global_buffer
      - .actual_access:  read_only
        .address_space:  global
        .offset:         24
        .size:           8
        .value_kind:     global_buffer
      - .actual_access:  read_only
        .address_space:  global
        .offset:         32
        .size:           8
        .value_kind:     global_buffer
      - .actual_access:  read_only
        .address_space:  global
        .offset:         40
        .size:           8
        .value_kind:     global_buffer
      - .actual_access:  read_only
        .address_space:  global
        .offset:         48
        .size:           8
        .value_kind:     global_buffer
      - .actual_access:  read_only
        .address_space:  global
        .offset:         56
        .size:           8
        .value_kind:     global_buffer
      - .actual_access:  write_only
        .address_space:  global
        .offset:         64
        .size:           8
        .value_kind:     global_buffer
      - .offset:         72
        .size:           4
        .value_kind:     by_value
      - .offset:         76
        .size:           4
        .value_kind:     by_value
      - .offset:         80
        .size:           4
        .value_kind:     by_value
      - .offset:         84
        .size:           1
        .value_kind:     by_value
      - .offset:         85
        .size:           1
        .value_kind:     by_value
    .group_segment_fixed_size: 0
    .kernarg_segment_align: 8
    .kernarg_segment_size: 88
    .language:       OpenCL C
    .language_version:
      - 2
      - 0
    .max_flat_workgroup_size: 1024
    .name:           _ZN9rocsparseL25csrgemm_nnz_block_per_rowILj1024ELj32ELj8192ELj79EliEEvPKT4_S3_PKT3_S3_S6_S3_S6_S3_PS4_21rocsparse_index_base_S8_S8_bb
    .private_segment_fixed_size: 0
    .sgpr_count:     31
    .sgpr_spill_count: 0
    .symbol:         _ZN9rocsparseL25csrgemm_nnz_block_per_rowILj1024ELj32ELj8192ELj79EliEEvPKT4_S3_PKT3_S3_S6_S3_S6_S3_PS4_21rocsparse_index_base_S8_S8_bb.kd
    .uniform_work_group_size: 1
    .uses_dynamic_stack: false
    .vgpr_count:     18
    .vgpr_spill_count: 0
    .wavefront_size: 32
    .workgroup_processor_mode: 1
  - .args:
      - .actual_access:  read_only
        .address_space:  global
        .offset:         0
        .size:           8
        .value_kind:     global_buffer
      - .actual_access:  read_only
        .address_space:  global
        .offset:         8
        .size:           8
        .value_kind:     global_buffer
      - .actual_access:  read_only
        .address_space:  global
        .offset:         16
        .size:           8
        .value_kind:     global_buffer
      - .actual_access:  read_only
        .address_space:  global
        .offset:         24
        .size:           8
        .value_kind:     global_buffer
      - .actual_access:  read_only
        .address_space:  global
        .offset:         32
        .size:           8
        .value_kind:     global_buffer
      - .actual_access:  read_only
        .address_space:  global
        .offset:         40
        .size:           8
        .value_kind:     global_buffer
      - .actual_access:  read_only
        .address_space:  global
        .offset:         48
        .size:           8
        .value_kind:     global_buffer
      - .actual_access:  read_only
        .address_space:  global
        .offset:         56
        .size:           8
        .value_kind:     global_buffer
      - .actual_access:  write_only
        .address_space:  global
        .offset:         64
        .size:           8
        .value_kind:     global_buffer
      - .offset:         72
        .size:           4
        .value_kind:     by_value
      - .offset:         76
        .size:           4
        .value_kind:     by_value
      - .offset:         80
        .size:           4
        .value_kind:     by_value
      - .offset:         84
        .size:           1
        .value_kind:     by_value
      - .offset:         85
        .size:           1
        .value_kind:     by_value
    .group_segment_fixed_size: 0
    .kernarg_segment_align: 8
    .kernarg_segment_size: 88
    .language:       OpenCL C
    .language_version:
      - 2
      - 0
    .max_flat_workgroup_size: 1024
    .name:           _ZN9rocsparseL25csrgemm_nnz_block_per_rowILj1024ELj32ELj16384ELj79EliEEvPKT4_S3_PKT3_S3_S6_S3_S6_S3_PS4_21rocsparse_index_base_S8_S8_bb
    .private_segment_fixed_size: 0
    .sgpr_count:     38
    .sgpr_spill_count: 0
    .symbol:         _ZN9rocsparseL25csrgemm_nnz_block_per_rowILj1024ELj32ELj16384ELj79EliEEvPKT4_S3_PKT3_S3_S6_S3_S6_S3_PS4_21rocsparse_index_base_S8_S8_bb.kd
    .uniform_work_group_size: 1
    .uses_dynamic_stack: false
    .vgpr_count:     17
    .vgpr_spill_count: 0
    .wavefront_size: 32
    .workgroup_processor_mode: 1
  - .args:
      - .actual_access:  read_only
        .address_space:  global
        .offset:         0
        .size:           8
        .value_kind:     global_buffer
      - .actual_access:  read_only
        .address_space:  global
        .offset:         8
        .size:           8
        .value_kind:     global_buffer
      - .actual_access:  read_only
        .address_space:  global
        .offset:         16
        .size:           8
        .value_kind:     global_buffer
      - .actual_access:  read_only
        .address_space:  global
        .offset:         24
        .size:           8
        .value_kind:     global_buffer
      - .actual_access:  read_only
        .address_space:  global
        .offset:         32
        .size:           8
        .value_kind:     global_buffer
      - .actual_access:  read_only
        .address_space:  global
        .offset:         40
        .size:           8
        .value_kind:     global_buffer
      - .actual_access:  read_only
        .address_space:  global
        .offset:         48
        .size:           8
        .value_kind:     global_buffer
      - .actual_access:  read_only
        .address_space:  global
        .offset:         56
        .size:           8
        .value_kind:     global_buffer
      - .actual_access:  write_only
        .address_space:  global
        .offset:         64
        .size:           8
        .value_kind:     global_buffer
      - .offset:         72
        .size:           4
        .value_kind:     by_value
      - .offset:         76
        .size:           4
        .value_kind:     by_value
      - .offset:         80
        .size:           4
        .value_kind:     by_value
      - .offset:         84
        .size:           1
        .value_kind:     by_value
      - .offset:         85
        .size:           1
        .value_kind:     by_value
    .group_segment_fixed_size: 0
    .kernarg_segment_align: 8
    .kernarg_segment_size: 88
    .language:       OpenCL C
    .language_version:
      - 2
      - 0
    .max_flat_workgroup_size: 1024
    .name:           _ZN9rocsparseL25csrgemm_nnz_block_per_rowILj1024ELj32ELj32768ELj79EliEEvPKT4_S3_PKT3_S3_S6_S3_S6_S3_PS4_21rocsparse_index_base_S8_S8_bb
    .private_segment_fixed_size: 0
    .sgpr_count:     38
    .sgpr_spill_count: 0
    .symbol:         _ZN9rocsparseL25csrgemm_nnz_block_per_rowILj1024ELj32ELj32768ELj79EliEEvPKT4_S3_PKT3_S3_S6_S3_S6_S3_PS4_21rocsparse_index_base_S8_S8_bb.kd
    .uniform_work_group_size: 1
    .uses_dynamic_stack: false
    .vgpr_count:     17
    .vgpr_spill_count: 0
    .wavefront_size: 32
    .workgroup_processor_mode: 1
  - .args:
      - .actual_access:  read_only
        .address_space:  global
        .offset:         0
        .size:           8
        .value_kind:     global_buffer
      - .actual_access:  read_only
        .address_space:  global
        .offset:         8
        .size:           8
        .value_kind:     global_buffer
      - .actual_access:  read_only
        .address_space:  global
        .offset:         16
        .size:           8
        .value_kind:     global_buffer
      - .actual_access:  read_only
        .address_space:  global
        .offset:         24
        .size:           8
        .value_kind:     global_buffer
      - .actual_access:  read_only
        .address_space:  global
        .offset:         32
        .size:           8
        .value_kind:     global_buffer
      - .actual_access:  read_only
        .address_space:  global
        .offset:         40
        .size:           8
        .value_kind:     global_buffer
      - .actual_access:  read_only
        .address_space:  global
        .offset:         48
        .size:           8
        .value_kind:     global_buffer
      - .actual_access:  read_only
        .address_space:  global
        .offset:         56
        .size:           8
        .value_kind:     global_buffer
      - .actual_access:  write_only
        .address_space:  global
        .offset:         64
        .size:           8
        .value_kind:     global_buffer
      - .offset:         72
        .size:           4
        .value_kind:     by_value
      - .offset:         76
        .size:           4
        .value_kind:     by_value
      - .offset:         80
        .size:           4
        .value_kind:     by_value
      - .offset:         84
        .size:           1
        .value_kind:     by_value
      - .offset:         85
        .size:           1
        .value_kind:     by_value
    .group_segment_fixed_size: 0
    .kernarg_segment_align: 8
    .kernarg_segment_size: 88
    .language:       OpenCL C
    .language_version:
      - 2
      - 0
    .max_flat_workgroup_size: 1024
    .name:           _ZN9rocsparseL25csrgemm_nnz_block_per_rowILj1024ELj32ELj65536ELj79EliEEvPKT4_S3_PKT3_S3_S6_S3_S6_S3_PS4_21rocsparse_index_base_S8_S8_bb
    .private_segment_fixed_size: 0
    .sgpr_count:     38
    .sgpr_spill_count: 0
    .symbol:         _ZN9rocsparseL25csrgemm_nnz_block_per_rowILj1024ELj32ELj65536ELj79EliEEvPKT4_S3_PKT3_S3_S6_S3_S6_S3_PS4_21rocsparse_index_base_S8_S8_bb.kd
    .uniform_work_group_size: 1
    .uses_dynamic_stack: false
    .vgpr_count:     17
    .vgpr_spill_count: 0
    .wavefront_size: 32
    .workgroup_processor_mode: 1
  - .args:
      - .offset:         0
        .size:           4
        .value_kind:     by_value
      - .actual_access:  read_only
        .address_space:  global
        .offset:         8
        .size:           8
        .value_kind:     global_buffer
      - .actual_access:  read_only
        .address_space:  global
        .offset:         16
        .size:           8
        .value_kind:     global_buffer
      - .actual_access:  read_only
        .address_space:  global
        .offset:         24
        .size:           8
        .value_kind:     global_buffer
      - .actual_access:  read_only
        .address_space:  global
        .offset:         32
        .size:           8
        .value_kind:     global_buffer
      - .actual_access:  read_only
        .address_space:  global
        .offset:         40
        .size:           8
        .value_kind:     global_buffer
      - .actual_access:  read_only
        .address_space:  global
        .offset:         48
        .size:           8
        .value_kind:     global_buffer
      - .actual_access:  read_only
        .address_space:  global
        .offset:         56
        .size:           8
        .value_kind:     global_buffer
      - .actual_access:  read_only
        .address_space:  global
        .offset:         64
        .size:           8
        .value_kind:     global_buffer
      - .actual_access:  write_only
        .address_space:  global
        .offset:         72
        .size:           8
        .value_kind:     global_buffer
      - .address_space:  global
        .offset:         80
        .size:           8
        .value_kind:     global_buffer
      - .offset:         88
        .size:           4
        .value_kind:     by_value
      - .offset:         92
        .size:           4
        .value_kind:     by_value
      - .offset:         96
        .size:           4
        .value_kind:     by_value
      - .offset:         100
        .size:           1
        .value_kind:     by_value
      - .offset:         101
        .size:           1
        .value_kind:     by_value
    .group_segment_fixed_size: 2056
    .kernarg_segment_align: 8
    .kernarg_segment_size: 104
    .language:       OpenCL C
    .language_version:
      - 2
      - 0
    .max_flat_workgroup_size: 512
    .name:           _ZN9rocsparseL35csrgemm_nnz_block_per_row_multipassILj512ELj16ELj2048EliEEvT3_PKS1_S3_PKT2_S3_S6_S3_S6_S3_PS4_S7_21rocsparse_index_base_S8_S8_bb
    .private_segment_fixed_size: 0
    .sgpr_count:     43
    .sgpr_spill_count: 0
    .symbol:         _ZN9rocsparseL35csrgemm_nnz_block_per_row_multipassILj512ELj16ELj2048EliEEvT3_PKS1_S3_PKT2_S3_S6_S3_S6_S3_PS4_S7_21rocsparse_index_base_S8_S8_bb.kd
    .uniform_work_group_size: 1
    .uses_dynamic_stack: false
    .vgpr_count:     33
    .vgpr_spill_count: 0
    .wavefront_size: 32
    .workgroup_processor_mode: 1
  - .args:
      - .address_space:  global
        .offset:         0
        .size:           8
        .value_kind:     global_buffer
    .group_segment_fixed_size: 0
    .kernarg_segment_align: 8
    .kernarg_segment_size: 8
    .language:       OpenCL C
    .language_version:
      - 2
      - 0
    .max_flat_workgroup_size: 1
    .name:           _ZN9rocsparseL18csrgemm_index_baseILj1ElEEvPT0_
    .private_segment_fixed_size: 0
    .sgpr_count:     4
    .sgpr_spill_count: 0
    .symbol:         _ZN9rocsparseL18csrgemm_index_baseILj1ElEEvPT0_.kd
    .uniform_work_group_size: 1
    .uses_dynamic_stack: false
    .vgpr_count:     3
    .vgpr_spill_count: 0
    .wavefront_size: 32
    .workgroup_processor_mode: 1
  - .args:
      - .offset:         0
        .size:           8
        .value_kind:     by_value
      - .actual_access:  read_only
        .address_space:  global
        .offset:         8
        .size:           8
        .value_kind:     global_buffer
      - .actual_access:  read_only
        .address_space:  global
        .offset:         16
        .size:           8
        .value_kind:     global_buffer
      - .actual_access:  read_only
        .address_space:  global
        .offset:         24
        .size:           8
        .value_kind:     global_buffer
      - .actual_access:  read_only
        .address_space:  global
        .offset:         32
        .size:           8
        .value_kind:     global_buffer
      - .actual_access:  write_only
        .address_space:  global
        .offset:         40
        .size:           8
        .value_kind:     global_buffer
      - .offset:         48
        .size:           4
        .value_kind:     by_value
      - .offset:         52
        .size:           1
        .value_kind:     by_value
      - .offset:         53
        .size:           1
        .value_kind:     by_value
    .group_segment_fixed_size: 0
    .kernarg_segment_align: 8
    .kernarg_segment_size: 56
    .language:       OpenCL C
    .language_version:
      - 2
      - 0
    .max_flat_workgroup_size: 256
    .name:           _ZN9rocsparseL29csrgemm_intermediate_productsILj256ELj8EllEEvT2_PKT1_PKS1_S4_S4_PS2_21rocsparse_index_base_bb
    .private_segment_fixed_size: 0
    .sgpr_count:     18
    .sgpr_spill_count: 0
    .symbol:         _ZN9rocsparseL29csrgemm_intermediate_productsILj256ELj8EllEEvT2_PKT1_PKS1_S4_S4_PS2_21rocsparse_index_base_bb.kd
    .uniform_work_group_size: 1
    .uses_dynamic_stack: false
    .vgpr_count:     14
    .vgpr_spill_count: 0
    .wavefront_size: 32
    .workgroup_processor_mode: 1
  - .args:
      - .offset:         0
        .size:           8
        .value_kind:     by_value
      - .address_space:  global
        .offset:         8
        .size:           8
        .value_kind:     global_buffer
      - .actual_access:  write_only
        .address_space:  global
        .offset:         16
        .size:           8
        .value_kind:     global_buffer
      - .offset:         24
        .size:           4
        .value_kind:     by_value
      - .offset:         32
        .size:           4
        .value_kind:     hidden_block_count_x
      - .offset:         36
        .size:           4
        .value_kind:     hidden_block_count_y
      - .offset:         40
        .size:           4
        .value_kind:     hidden_block_count_z
      - .offset:         44
        .size:           2
        .value_kind:     hidden_group_size_x
      - .offset:         46
        .size:           2
        .value_kind:     hidden_group_size_y
      - .offset:         48
        .size:           2
        .value_kind:     hidden_group_size_z
      - .offset:         50
        .size:           2
        .value_kind:     hidden_remainder_x
      - .offset:         52
        .size:           2
        .value_kind:     hidden_remainder_y
      - .offset:         54
        .size:           2
        .value_kind:     hidden_remainder_z
      - .offset:         72
        .size:           8
        .value_kind:     hidden_global_offset_x
      - .offset:         80
        .size:           8
        .value_kind:     hidden_global_offset_y
      - .offset:         88
        .size:           8
        .value_kind:     hidden_global_offset_z
      - .offset:         96
        .size:           2
        .value_kind:     hidden_grid_dims
    .group_segment_fixed_size: 22528
    .kernarg_segment_align: 8
    .kernarg_segment_size: 288
    .language:       OpenCL C
    .language_version:
      - 2
      - 0
    .max_flat_workgroup_size: 256
    .name:           _ZN9rocsparseL26csrgemm_group_reduce_part1ILj256ELj11EllEEvT2_PT1_PS1_j
    .private_segment_fixed_size: 0
    .sgpr_count:     25
    .sgpr_spill_count: 0
    .symbol:         _ZN9rocsparseL26csrgemm_group_reduce_part1ILj256ELj11EllEEvT2_PT1_PS1_j.kd
    .uniform_work_group_size: 1
    .uses_dynamic_stack: false
    .vgpr_count:     43
    .vgpr_spill_count: 0
    .wavefront_size: 32
    .workgroup_processor_mode: 1
  - .args:
      - .offset:         0
        .size:           8
        .value_kind:     by_value
      - .actual_access:  read_only
        .address_space:  global
        .offset:         8
        .size:           8
        .value_kind:     global_buffer
      - .actual_access:  read_only
        .address_space:  global
        .offset:         16
        .size:           8
        .value_kind:     global_buffer
      - .actual_access:  read_only
        .address_space:  global
        .offset:         24
        .size:           8
        .value_kind:     global_buffer
      - .actual_access:  read_only
        .address_space:  global
        .offset:         32
        .size:           8
        .value_kind:     global_buffer
      - .actual_access:  read_only
        .address_space:  global
        .offset:         40
        .size:           8
        .value_kind:     global_buffer
      - .actual_access:  read_only
        .address_space:  global
        .offset:         48
        .size:           8
        .value_kind:     global_buffer
      - .actual_access:  read_only
        .address_space:  global
        .offset:         56
        .size:           8
        .value_kind:     global_buffer
      - .actual_access:  read_only
        .address_space:  global
        .offset:         64
        .size:           8
        .value_kind:     global_buffer
      - .actual_access:  write_only
        .address_space:  global
        .offset:         72
        .size:           8
        .value_kind:     global_buffer
      - .offset:         80
        .size:           4
        .value_kind:     by_value
      - .offset:         84
        .size:           4
        .value_kind:     by_value
      - .offset:         88
        .size:           4
        .value_kind:     by_value
      - .offset:         92
        .size:           1
        .value_kind:     by_value
      - .offset:         93
        .size:           1
        .value_kind:     by_value
    .group_segment_fixed_size: 8192
    .kernarg_segment_align: 8
    .kernarg_segment_size: 96
    .language:       OpenCL C
    .language_version:
      - 2
      - 0
    .max_flat_workgroup_size: 128
    .name:           _ZN9rocsparseL22csrgemm_nnz_wf_per_rowILj128ELj4ELj32ELj79EllEEvT4_PKS1_S3_PKT3_S3_S6_S3_S6_S3_PS4_21rocsparse_index_base_S8_S8_bb
    .private_segment_fixed_size: 0
    .sgpr_count:     33
    .sgpr_spill_count: 0
    .symbol:         _ZN9rocsparseL22csrgemm_nnz_wf_per_rowILj128ELj4ELj32ELj79EllEEvT4_PKS1_S3_PKT3_S3_S6_S3_S6_S3_PS4_21rocsparse_index_base_S8_S8_bb.kd
    .uniform_work_group_size: 1
    .uses_dynamic_stack: false
    .vgpr_count:     20
    .vgpr_spill_count: 0
    .wavefront_size: 32
    .workgroup_processor_mode: 1
  - .args:
      - .offset:         0
        .size:           8
        .value_kind:     by_value
      - .actual_access:  read_only
        .address_space:  global
        .offset:         8
        .size:           8
        .value_kind:     global_buffer
      - .actual_access:  read_only
        .address_space:  global
        .offset:         16
        .size:           8
        .value_kind:     global_buffer
      - .actual_access:  read_only
        .address_space:  global
        .offset:         24
        .size:           8
        .value_kind:     global_buffer
      - .actual_access:  read_only
        .address_space:  global
        .offset:         32
        .size:           8
        .value_kind:     global_buffer
      - .actual_access:  read_only
        .address_space:  global
        .offset:         40
        .size:           8
        .value_kind:     global_buffer
      - .actual_access:  read_only
        .address_space:  global
        .offset:         48
        .size:           8
        .value_kind:     global_buffer
      - .actual_access:  read_only
        .address_space:  global
        .offset:         56
        .size:           8
        .value_kind:     global_buffer
      - .actual_access:  read_only
        .address_space:  global
        .offset:         64
        .size:           8
        .value_kind:     global_buffer
      - .actual_access:  write_only
        .address_space:  global
        .offset:         72
        .size:           8
        .value_kind:     global_buffer
      - .offset:         80
        .size:           4
        .value_kind:     by_value
      - .offset:         84
        .size:           4
        .value_kind:     by_value
      - .offset:         88
        .size:           4
        .value_kind:     by_value
      - .offset:         92
        .size:           1
        .value_kind:     by_value
      - .offset:         93
        .size:           1
        .value_kind:     by_value
    .group_segment_fixed_size: 16384
    .kernarg_segment_align: 8
    .kernarg_segment_size: 96
    .language:       OpenCL C
    .language_version:
      - 2
      - 0
    .max_flat_workgroup_size: 256
    .name:           _ZN9rocsparseL22csrgemm_nnz_wf_per_rowILj256ELj8ELj64ELj79EllEEvT4_PKS1_S3_PKT3_S3_S6_S3_S6_S3_PS4_21rocsparse_index_base_S8_S8_bb
    .private_segment_fixed_size: 0
    .sgpr_count:     33
    .sgpr_spill_count: 0
    .symbol:         _ZN9rocsparseL22csrgemm_nnz_wf_per_rowILj256ELj8ELj64ELj79EllEEvT4_PKS1_S3_PKT3_S3_S6_S3_S6_S3_PS4_21rocsparse_index_base_S8_S8_bb.kd
    .uniform_work_group_size: 1
    .uses_dynamic_stack: false
    .vgpr_count:     20
    .vgpr_spill_count: 0
    .wavefront_size: 32
    .workgroup_processor_mode: 1
  - .args:
      - .actual_access:  read_only
        .address_space:  global
        .offset:         0
        .size:           8
        .value_kind:     global_buffer
      - .actual_access:  read_only
        .address_space:  global
        .offset:         8
        .size:           8
        .value_kind:     global_buffer
      - .actual_access:  read_only
        .address_space:  global
        .offset:         16
        .size:           8
        .value_kind:     global_buffer
      - .actual_access:  read_only
        .address_space:  global
        .offset:         24
        .size:           8
        .value_kind:     global_buffer
      - .actual_access:  read_only
        .address_space:  global
        .offset:         32
        .size:           8
        .value_kind:     global_buffer
      - .actual_access:  read_only
        .address_space:  global
        .offset:         40
        .size:           8
        .value_kind:     global_buffer
      - .actual_access:  read_only
        .address_space:  global
        .offset:         48
        .size:           8
        .value_kind:     global_buffer
      - .actual_access:  read_only
        .address_space:  global
        .offset:         56
        .size:           8
        .value_kind:     global_buffer
      - .actual_access:  write_only
        .address_space:  global
        .offset:         64
        .size:           8
        .value_kind:     global_buffer
      - .offset:         72
        .size:           4
        .value_kind:     by_value
      - .offset:         76
        .size:           4
        .value_kind:     by_value
      - .offset:         80
        .size:           4
        .value_kind:     by_value
      - .offset:         84
        .size:           1
        .value_kind:     by_value
      - .offset:         85
        .size:           1
        .value_kind:     by_value
    .group_segment_fixed_size: 0
    .kernarg_segment_align: 8
    .kernarg_segment_size: 88
    .language:       OpenCL C
    .language_version:
      - 2
      - 0
    .max_flat_workgroup_size: 128
    .name:           _ZN9rocsparseL25csrgemm_nnz_block_per_rowILj128ELj8ELj512ELj79EllEEvPKT4_S3_PKT3_S3_S6_S3_S6_S3_PS4_21rocsparse_index_base_S8_S8_bb
    .private_segment_fixed_size: 0
    .sgpr_count:     38
    .sgpr_spill_count: 0
    .symbol:         _ZN9rocsparseL25csrgemm_nnz_block_per_rowILj128ELj8ELj512ELj79EllEEvPKT4_S3_PKT3_S3_S6_S3_S6_S3_PS4_21rocsparse_index_base_S8_S8_bb.kd
    .uniform_work_group_size: 1
    .uses_dynamic_stack: false
    .vgpr_count:     20
    .vgpr_spill_count: 0
    .wavefront_size: 32
    .workgroup_processor_mode: 1
  - .args:
      - .actual_access:  read_only
        .address_space:  global
        .offset:         0
        .size:           8
        .value_kind:     global_buffer
      - .actual_access:  read_only
        .address_space:  global
        .offset:         8
        .size:           8
        .value_kind:     global_buffer
      - .actual_access:  read_only
        .address_space:  global
        .offset:         16
        .size:           8
        .value_kind:     global_buffer
      - .actual_access:  read_only
        .address_space:  global
        .offset:         24
        .size:           8
        .value_kind:     global_buffer
      - .actual_access:  read_only
        .address_space:  global
        .offset:         32
        .size:           8
        .value_kind:     global_buffer
      - .actual_access:  read_only
        .address_space:  global
        .offset:         40
        .size:           8
        .value_kind:     global_buffer
      - .actual_access:  read_only
        .address_space:  global
        .offset:         48
        .size:           8
        .value_kind:     global_buffer
      - .actual_access:  read_only
        .address_space:  global
        .offset:         56
        .size:           8
        .value_kind:     global_buffer
      - .actual_access:  write_only
        .address_space:  global
        .offset:         64
        .size:           8
        .value_kind:     global_buffer
      - .offset:         72
        .size:           4
        .value_kind:     by_value
      - .offset:         76
        .size:           4
        .value_kind:     by_value
      - .offset:         80
        .size:           4
        .value_kind:     by_value
      - .offset:         84
        .size:           1
        .value_kind:     by_value
      - .offset:         85
        .size:           1
        .value_kind:     by_value
    .group_segment_fixed_size: 0
    .kernarg_segment_align: 8
    .kernarg_segment_size: 88
    .language:       OpenCL C
    .language_version:
      - 2
      - 0
    .max_flat_workgroup_size: 128
    .name:           _ZN9rocsparseL25csrgemm_nnz_block_per_rowILj128ELj8ELj1024ELj79EllEEvPKT4_S3_PKT3_S3_S6_S3_S6_S3_PS4_21rocsparse_index_base_S8_S8_bb
    .private_segment_fixed_size: 0
    .sgpr_count:     31
    .sgpr_spill_count: 0
    .symbol:         _ZN9rocsparseL25csrgemm_nnz_block_per_rowILj128ELj8ELj1024ELj79EllEEvPKT4_S3_PKT3_S3_S6_S3_S6_S3_PS4_21rocsparse_index_base_S8_S8_bb.kd
    .uniform_work_group_size: 1
    .uses_dynamic_stack: false
    .vgpr_count:     20
    .vgpr_spill_count: 0
    .wavefront_size: 32
    .workgroup_processor_mode: 1
  - .args:
      - .actual_access:  read_only
        .address_space:  global
        .offset:         0
        .size:           8
        .value_kind:     global_buffer
      - .actual_access:  read_only
        .address_space:  global
        .offset:         8
        .size:           8
        .value_kind:     global_buffer
      - .actual_access:  read_only
        .address_space:  global
        .offset:         16
        .size:           8
        .value_kind:     global_buffer
      - .actual_access:  read_only
        .address_space:  global
        .offset:         24
        .size:           8
        .value_kind:     global_buffer
      - .actual_access:  read_only
        .address_space:  global
        .offset:         32
        .size:           8
        .value_kind:     global_buffer
      - .actual_access:  read_only
        .address_space:  global
        .offset:         40
        .size:           8
        .value_kind:     global_buffer
      - .actual_access:  read_only
        .address_space:  global
        .offset:         48
        .size:           8
        .value_kind:     global_buffer
      - .actual_access:  read_only
        .address_space:  global
        .offset:         56
        .size:           8
        .value_kind:     global_buffer
      - .actual_access:  write_only
        .address_space:  global
        .offset:         64
        .size:           8
        .value_kind:     global_buffer
      - .offset:         72
        .size:           4
        .value_kind:     by_value
      - .offset:         76
        .size:           4
        .value_kind:     by_value
      - .offset:         80
        .size:           4
        .value_kind:     by_value
      - .offset:         84
        .size:           1
        .value_kind:     by_value
      - .offset:         85
        .size:           1
        .value_kind:     by_value
    .group_segment_fixed_size: 0
    .kernarg_segment_align: 8
    .kernarg_segment_size: 88
    .language:       OpenCL C
    .language_version:
      - 2
      - 0
    .max_flat_workgroup_size: 256
    .name:           _ZN9rocsparseL25csrgemm_nnz_block_per_rowILj256ELj16ELj2048ELj79EllEEvPKT4_S3_PKT3_S3_S6_S3_S6_S3_PS4_21rocsparse_index_base_S8_S8_bb
    .private_segment_fixed_size: 0
    .sgpr_count:     31
    .sgpr_spill_count: 0
    .symbol:         _ZN9rocsparseL25csrgemm_nnz_block_per_rowILj256ELj16ELj2048ELj79EllEEvPKT4_S3_PKT3_S3_S6_S3_S6_S3_PS4_21rocsparse_index_base_S8_S8_bb.kd
    .uniform_work_group_size: 1
    .uses_dynamic_stack: false
    .vgpr_count:     20
    .vgpr_spill_count: 0
    .wavefront_size: 32
    .workgroup_processor_mode: 1
  - .args:
      - .actual_access:  read_only
        .address_space:  global
        .offset:         0
        .size:           8
        .value_kind:     global_buffer
      - .actual_access:  read_only
        .address_space:  global
        .offset:         8
        .size:           8
        .value_kind:     global_buffer
      - .actual_access:  read_only
        .address_space:  global
        .offset:         16
        .size:           8
        .value_kind:     global_buffer
      - .actual_access:  read_only
        .address_space:  global
        .offset:         24
        .size:           8
        .value_kind:     global_buffer
      - .actual_access:  read_only
        .address_space:  global
        .offset:         32
        .size:           8
        .value_kind:     global_buffer
      - .actual_access:  read_only
        .address_space:  global
        .offset:         40
        .size:           8
        .value_kind:     global_buffer
      - .actual_access:  read_only
        .address_space:  global
        .offset:         48
        .size:           8
        .value_kind:     global_buffer
      - .actual_access:  read_only
        .address_space:  global
        .offset:         56
        .size:           8
        .value_kind:     global_buffer
      - .actual_access:  write_only
        .address_space:  global
        .offset:         64
        .size:           8
        .value_kind:     global_buffer
      - .offset:         72
        .size:           4
        .value_kind:     by_value
      - .offset:         76
        .size:           4
        .value_kind:     by_value
      - .offset:         80
        .size:           4
        .value_kind:     by_value
      - .offset:         84
        .size:           1
        .value_kind:     by_value
      - .offset:         85
        .size:           1
        .value_kind:     by_value
    .group_segment_fixed_size: 0
    .kernarg_segment_align: 8
    .kernarg_segment_size: 88
    .language:       OpenCL C
    .language_version:
      - 2
      - 0
    .max_flat_workgroup_size: 512
    .name:           _ZN9rocsparseL25csrgemm_nnz_block_per_rowILj512ELj16ELj4096ELj79EllEEvPKT4_S3_PKT3_S3_S6_S3_S6_S3_PS4_21rocsparse_index_base_S8_S8_bb
    .private_segment_fixed_size: 0
    .sgpr_count:     31
    .sgpr_spill_count: 0
    .symbol:         _ZN9rocsparseL25csrgemm_nnz_block_per_rowILj512ELj16ELj4096ELj79EllEEvPKT4_S3_PKT3_S3_S6_S3_S6_S3_PS4_21rocsparse_index_base_S8_S8_bb.kd
    .uniform_work_group_size: 1
    .uses_dynamic_stack: false
    .vgpr_count:     20
    .vgpr_spill_count: 0
    .wavefront_size: 32
    .workgroup_processor_mode: 1
  - .args:
      - .actual_access:  read_only
        .address_space:  global
        .offset:         0
        .size:           8
        .value_kind:     global_buffer
      - .actual_access:  read_only
        .address_space:  global
        .offset:         8
        .size:           8
        .value_kind:     global_buffer
      - .actual_access:  read_only
        .address_space:  global
        .offset:         16
        .size:           8
        .value_kind:     global_buffer
      - .actual_access:  read_only
        .address_space:  global
        .offset:         24
        .size:           8
        .value_kind:     global_buffer
      - .actual_access:  read_only
        .address_space:  global
        .offset:         32
        .size:           8
        .value_kind:     global_buffer
      - .actual_access:  read_only
        .address_space:  global
        .offset:         40
        .size:           8
        .value_kind:     global_buffer
      - .actual_access:  read_only
        .address_space:  global
        .offset:         48
        .size:           8
        .value_kind:     global_buffer
      - .actual_access:  read_only
        .address_space:  global
        .offset:         56
        .size:           8
        .value_kind:     global_buffer
      - .actual_access:  write_only
        .address_space:  global
        .offset:         64
        .size:           8
        .value_kind:     global_buffer
      - .offset:         72
        .size:           4
        .value_kind:     by_value
      - .offset:         76
        .size:           4
        .value_kind:     by_value
      - .offset:         80
        .size:           4
        .value_kind:     by_value
      - .offset:         84
        .size:           1
        .value_kind:     by_value
      - .offset:         85
        .size:           1
        .value_kind:     by_value
    .group_segment_fixed_size: 0
    .kernarg_segment_align: 8
    .kernarg_segment_size: 88
    .language:       OpenCL C
    .language_version:
      - 2
      - 0
    .max_flat_workgroup_size: 1024
    .name:           _ZN9rocsparseL25csrgemm_nnz_block_per_rowILj1024ELj32ELj8192ELj79EllEEvPKT4_S3_PKT3_S3_S6_S3_S6_S3_PS4_21rocsparse_index_base_S8_S8_bb
    .private_segment_fixed_size: 0
    .sgpr_count:     31
    .sgpr_spill_count: 0
    .symbol:         _ZN9rocsparseL25csrgemm_nnz_block_per_rowILj1024ELj32ELj8192ELj79EllEEvPKT4_S3_PKT3_S3_S6_S3_S6_S3_PS4_21rocsparse_index_base_S8_S8_bb.kd
    .uniform_work_group_size: 1
    .uses_dynamic_stack: false
    .vgpr_count:     20
    .vgpr_spill_count: 0
    .wavefront_size: 32
    .workgroup_processor_mode: 1
  - .args:
      - .actual_access:  read_only
        .address_space:  global
        .offset:         0
        .size:           8
        .value_kind:     global_buffer
      - .actual_access:  read_only
        .address_space:  global
        .offset:         8
        .size:           8
        .value_kind:     global_buffer
      - .actual_access:  read_only
        .address_space:  global
        .offset:         16
        .size:           8
        .value_kind:     global_buffer
      - .actual_access:  read_only
        .address_space:  global
        .offset:         24
        .size:           8
        .value_kind:     global_buffer
      - .actual_access:  read_only
        .address_space:  global
        .offset:         32
        .size:           8
        .value_kind:     global_buffer
      - .actual_access:  read_only
        .address_space:  global
        .offset:         40
        .size:           8
        .value_kind:     global_buffer
      - .actual_access:  read_only
        .address_space:  global
        .offset:         48
        .size:           8
        .value_kind:     global_buffer
      - .actual_access:  read_only
        .address_space:  global
        .offset:         56
        .size:           8
        .value_kind:     global_buffer
      - .actual_access:  write_only
        .address_space:  global
        .offset:         64
        .size:           8
        .value_kind:     global_buffer
      - .offset:         72
        .size:           4
        .value_kind:     by_value
      - .offset:         76
        .size:           4
        .value_kind:     by_value
      - .offset:         80
        .size:           4
        .value_kind:     by_value
      - .offset:         84
        .size:           1
        .value_kind:     by_value
      - .offset:         85
        .size:           1
        .value_kind:     by_value
    .group_segment_fixed_size: 0
    .kernarg_segment_align: 8
    .kernarg_segment_size: 88
    .language:       OpenCL C
    .language_version:
      - 2
      - 0
    .max_flat_workgroup_size: 1024
    .name:           _ZN9rocsparseL25csrgemm_nnz_block_per_rowILj1024ELj32ELj16384ELj79EllEEvPKT4_S3_PKT3_S3_S6_S3_S6_S3_PS4_21rocsparse_index_base_S8_S8_bb
    .private_segment_fixed_size: 0
    .sgpr_count:     38
    .sgpr_spill_count: 0
    .symbol:         _ZN9rocsparseL25csrgemm_nnz_block_per_rowILj1024ELj32ELj16384ELj79EllEEvPKT4_S3_PKT3_S3_S6_S3_S6_S3_PS4_21rocsparse_index_base_S8_S8_bb.kd
    .uniform_work_group_size: 1
    .uses_dynamic_stack: false
    .vgpr_count:     19
    .vgpr_spill_count: 0
    .wavefront_size: 32
    .workgroup_processor_mode: 1
  - .args:
      - .actual_access:  read_only
        .address_space:  global
        .offset:         0
        .size:           8
        .value_kind:     global_buffer
      - .actual_access:  read_only
        .address_space:  global
        .offset:         8
        .size:           8
        .value_kind:     global_buffer
      - .actual_access:  read_only
        .address_space:  global
        .offset:         16
        .size:           8
        .value_kind:     global_buffer
      - .actual_access:  read_only
        .address_space:  global
        .offset:         24
        .size:           8
        .value_kind:     global_buffer
      - .actual_access:  read_only
        .address_space:  global
        .offset:         32
        .size:           8
        .value_kind:     global_buffer
      - .actual_access:  read_only
        .address_space:  global
        .offset:         40
        .size:           8
        .value_kind:     global_buffer
      - .actual_access:  read_only
        .address_space:  global
        .offset:         48
        .size:           8
        .value_kind:     global_buffer
      - .actual_access:  read_only
        .address_space:  global
        .offset:         56
        .size:           8
        .value_kind:     global_buffer
      - .actual_access:  write_only
        .address_space:  global
        .offset:         64
        .size:           8
        .value_kind:     global_buffer
      - .offset:         72
        .size:           4
        .value_kind:     by_value
      - .offset:         76
        .size:           4
        .value_kind:     by_value
      - .offset:         80
        .size:           4
        .value_kind:     by_value
      - .offset:         84
        .size:           1
        .value_kind:     by_value
      - .offset:         85
        .size:           1
        .value_kind:     by_value
    .group_segment_fixed_size: 0
    .kernarg_segment_align: 8
    .kernarg_segment_size: 88
    .language:       OpenCL C
    .language_version:
      - 2
      - 0
    .max_flat_workgroup_size: 1024
    .name:           _ZN9rocsparseL25csrgemm_nnz_block_per_rowILj1024ELj32ELj32768ELj79EllEEvPKT4_S3_PKT3_S3_S6_S3_S6_S3_PS4_21rocsparse_index_base_S8_S8_bb
    .private_segment_fixed_size: 0
    .sgpr_count:     38
    .sgpr_spill_count: 0
    .symbol:         _ZN9rocsparseL25csrgemm_nnz_block_per_rowILj1024ELj32ELj32768ELj79EllEEvPKT4_S3_PKT3_S3_S6_S3_S6_S3_PS4_21rocsparse_index_base_S8_S8_bb.kd
    .uniform_work_group_size: 1
    .uses_dynamic_stack: false
    .vgpr_count:     19
    .vgpr_spill_count: 0
    .wavefront_size: 32
    .workgroup_processor_mode: 1
  - .args:
      - .actual_access:  read_only
        .address_space:  global
        .offset:         0
        .size:           8
        .value_kind:     global_buffer
      - .actual_access:  read_only
        .address_space:  global
        .offset:         8
        .size:           8
        .value_kind:     global_buffer
      - .actual_access:  read_only
        .address_space:  global
        .offset:         16
        .size:           8
        .value_kind:     global_buffer
      - .actual_access:  read_only
        .address_space:  global
        .offset:         24
        .size:           8
        .value_kind:     global_buffer
      - .actual_access:  read_only
        .address_space:  global
        .offset:         32
        .size:           8
        .value_kind:     global_buffer
      - .actual_access:  read_only
        .address_space:  global
        .offset:         40
        .size:           8
        .value_kind:     global_buffer
      - .actual_access:  read_only
        .address_space:  global
        .offset:         48
        .size:           8
        .value_kind:     global_buffer
      - .actual_access:  read_only
        .address_space:  global
        .offset:         56
        .size:           8
        .value_kind:     global_buffer
      - .actual_access:  write_only
        .address_space:  global
        .offset:         64
        .size:           8
        .value_kind:     global_buffer
      - .offset:         72
        .size:           4
        .value_kind:     by_value
      - .offset:         76
        .size:           4
        .value_kind:     by_value
      - .offset:         80
        .size:           4
        .value_kind:     by_value
      - .offset:         84
        .size:           1
        .value_kind:     by_value
      - .offset:         85
        .size:           1
        .value_kind:     by_value
    .group_segment_fixed_size: 0
    .kernarg_segment_align: 8
    .kernarg_segment_size: 88
    .language:       OpenCL C
    .language_version:
      - 2
      - 0
    .max_flat_workgroup_size: 1024
    .name:           _ZN9rocsparseL25csrgemm_nnz_block_per_rowILj1024ELj32ELj65536ELj79EllEEvPKT4_S3_PKT3_S3_S6_S3_S6_S3_PS4_21rocsparse_index_base_S8_S8_bb
    .private_segment_fixed_size: 0
    .sgpr_count:     38
    .sgpr_spill_count: 0
    .symbol:         _ZN9rocsparseL25csrgemm_nnz_block_per_rowILj1024ELj32ELj65536ELj79EllEEvPKT4_S3_PKT3_S3_S6_S3_S6_S3_PS4_21rocsparse_index_base_S8_S8_bb.kd
    .uniform_work_group_size: 1
    .uses_dynamic_stack: false
    .vgpr_count:     19
    .vgpr_spill_count: 0
    .wavefront_size: 32
    .workgroup_processor_mode: 1
  - .args:
      - .offset:         0
        .size:           8
        .value_kind:     by_value
      - .actual_access:  read_only
        .address_space:  global
        .offset:         8
        .size:           8
        .value_kind:     global_buffer
      - .actual_access:  read_only
        .address_space:  global
        .offset:         16
        .size:           8
        .value_kind:     global_buffer
      - .actual_access:  read_only
        .address_space:  global
        .offset:         24
        .size:           8
        .value_kind:     global_buffer
      - .actual_access:  read_only
        .address_space:  global
        .offset:         32
        .size:           8
        .value_kind:     global_buffer
      - .actual_access:  read_only
        .address_space:  global
        .offset:         40
        .size:           8
        .value_kind:     global_buffer
      - .actual_access:  read_only
        .address_space:  global
        .offset:         48
        .size:           8
        .value_kind:     global_buffer
      - .actual_access:  read_only
        .address_space:  global
        .offset:         56
        .size:           8
        .value_kind:     global_buffer
      - .actual_access:  read_only
        .address_space:  global
        .offset:         64
        .size:           8
        .value_kind:     global_buffer
      - .actual_access:  write_only
        .address_space:  global
        .offset:         72
        .size:           8
        .value_kind:     global_buffer
      - .address_space:  global
        .offset:         80
        .size:           8
        .value_kind:     global_buffer
      - .offset:         88
        .size:           4
        .value_kind:     by_value
      - .offset:         92
        .size:           4
        .value_kind:     by_value
      - .offset:         96
        .size:           4
        .value_kind:     by_value
      - .offset:         100
        .size:           1
        .value_kind:     by_value
      - .offset:         101
        .size:           1
        .value_kind:     by_value
    .group_segment_fixed_size: 2064
    .kernarg_segment_align: 8
    .kernarg_segment_size: 104
    .language:       OpenCL C
    .language_version:
      - 2
      - 0
    .max_flat_workgroup_size: 512
    .name:           _ZN9rocsparseL35csrgemm_nnz_block_per_row_multipassILj512ELj16ELj2048EllEEvT3_PKS1_S3_PKT2_S3_S6_S3_S6_S3_PS4_S7_21rocsparse_index_base_S8_S8_bb
    .private_segment_fixed_size: 0
    .sgpr_count:     44
    .sgpr_spill_count: 0
    .symbol:         _ZN9rocsparseL35csrgemm_nnz_block_per_row_multipassILj512ELj16ELj2048EllEEvT3_PKS1_S3_PKT2_S3_S6_S3_S6_S3_PS4_S7_21rocsparse_index_base_S8_S8_bb.kd
    .uniform_work_group_size: 1
    .uses_dynamic_stack: false
    .vgpr_count:     37
    .vgpr_spill_count: 0
    .wavefront_size: 32
    .workgroup_processor_mode: 1
amdhsa.target:   amdgcn-amd-amdhsa--gfx1100
amdhsa.version:
  - 1
  - 2
...

	.end_amdgpu_metadata
